;; amdgpu-corpus repo=ROCm/rocFFT kind=compiled arch=gfx950 opt=O3
	.text
	.amdgcn_target "amdgcn-amd-amdhsa--gfx950"
	.amdhsa_code_object_version 6
	.protected	bluestein_single_back_len1728_dim1_dp_op_CI_CI ; -- Begin function bluestein_single_back_len1728_dim1_dp_op_CI_CI
	.globl	bluestein_single_back_len1728_dim1_dp_op_CI_CI
	.p2align	8
	.type	bluestein_single_back_len1728_dim1_dp_op_CI_CI,@function
bluestein_single_back_len1728_dim1_dp_op_CI_CI: ; @bluestein_single_back_len1728_dim1_dp_op_CI_CI
; %bb.0:
	s_load_dwordx4 s[8:11], s[0:1], 0x28
	v_mul_u32_u24_e32 v1, 0x25f, v0
	v_mov_b32_e32 v217, 0
	v_add_u32_sdwa v6, s2, v1 dst_sel:DWORD dst_unused:UNUSED_PAD src0_sel:DWORD src1_sel:WORD_1
	v_mov_b32_e32 v7, v217
	s_waitcnt lgkmcnt(0)
	v_cmp_gt_u64_e32 vcc, s[8:9], v[6:7]
	s_and_saveexec_b64 s[2:3], vcc
	s_cbranch_execz .LBB0_31
; %bb.1:
	s_load_dwordx4 s[4:7], s[0:1], 0x18
	s_load_dwordx2 s[14:15], s[0:1], 0x0
	v_mov_b32_e32 v2, s10
	v_mov_b32_e32 v3, s11
	s_movk_i32 s2, 0x6c
	s_waitcnt lgkmcnt(0)
	s_load_dwordx4 s[8:11], s[4:5], 0x0
	v_mul_lo_u16_sdwa v1, v1, s2 dst_sel:DWORD dst_unused:UNUSED_PAD src0_sel:WORD_1 src1_sel:DWORD
	v_sub_u16_e32 v216, v0, v1
	v_accvgpr_write_b32 a54, v6
	v_lshlrev_b32_e32 v56, 4, v216
	s_waitcnt lgkmcnt(0)
	v_mad_u64_u32 v[0:1], s[2:3], s10, v6, 0
	v_mov_b32_e32 v4, v1
	v_mad_u64_u32 v[4:5], s[2:3], s11, v6, v[4:5]
	v_mov_b32_e32 v1, v4
	v_mad_u64_u32 v[4:5], s[2:3], s8, v216, 0
	v_mov_b32_e32 v6, v5
	v_mad_u64_u32 v[6:7], s[2:3], s9, v216, v[6:7]
	s_mul_i32 s2, s9, 0x240
	s_mul_hi_u32 s3, s8, 0x240
	v_mov_b32_e32 v5, v6
	v_lshl_add_u64 v[8:9], v[0:1], 4, v[2:3]
	v_mov_b32_e32 v57, v217
	s_add_i32 s3, s3, s2
	s_mul_i32 s2, s8, 0x240
	v_lshl_add_u64 v[10:11], v[4:5], 4, v[8:9]
	v_lshl_add_u64 v[58:59], s[14:15], 0, v[56:57]
	s_lshl_b64 s[2:3], s[2:3], 4
	s_movk_i32 s4, 0x2000
	v_or_b32_e32 v18, 0x480, v216
	v_lshl_add_u64 v[12:13], v[10:11], 0, s[2:3]
	global_load_dwordx4 v[4:7], v[10:11], off
	global_load_dwordx4 v[0:3], v[12:13], off
	v_add_co_u32_e32 v16, vcc, s4, v58
	v_mad_u64_u32 v[10:11], s[4:5], s8, v18, 0
	v_mov_b32_e32 v14, v11
	v_mad_u64_u32 v[14:15], s[4:5], s9, v18, v[14:15]
	v_mov_b32_e32 v11, v14
	v_lshlrev_b32_e32 v14, 4, v18
	v_accvgpr_write_b32 a91, v14
	global_load_dwordx4 v[76:79], v14, s[14:15]
	v_mov_b32_e32 v14, 0xffffe2c0
	v_accvgpr_write_b32 a0, v18
	v_mad_u64_u32 v[18:19], s[4:5], s8, v14, v[12:13]
	s_mul_i32 s4, s9, 0xffffe2c0
	s_sub_i32 s4, s4, s8
	v_lshl_add_u64 v[8:9], v[10:11], 4, v[8:9]
	v_add_u32_e32 v19, s4, v19
	global_load_dwordx4 v[8:11], v[8:9], off
	s_nop 0
	global_load_dwordx4 v[12:15], v[18:19], off
	global_load_dwordx4 v[132:135], v56, s[14:15]
	global_load_dwordx4 v[80:83], v56, s[14:15] offset:1728
	v_addc_co_u32_e32 v17, vcc, 0, v59, vcc
	global_load_dwordx4 v[92:95], v[16:17], off offset:1024
	global_load_dwordx4 v[84:87], v[16:17], off offset:2752
	s_movk_i32 s4, 0x4000
	s_mul_hi_u32 s5, s8, 0xfffffbec
	v_lshl_add_u64 v[24:25], v[18:19], 0, s[2:3]
	v_add_co_u32_e32 v28, vcc, s4, v58
	s_mul_i32 s4, s9, 0xfffffbec
	s_sub_i32 s5, s5, s8
	v_lshl_add_u64 v[26:27], v[24:25], 0, s[2:3]
	global_load_dwordx4 v[20:23], v[24:25], off
	global_load_dwordx4 v[16:19], v[26:27], off
	v_addc_co_u32_e32 v29, vcc, 0, v59, vcc
	s_add_i32 s17, s5, s4
	s_mul_i32 s16, s8, 0xfffffbec
	global_load_dwordx4 v[88:91], v[28:29], off offset:3776
	s_lshl_b64 s[4:5], s[16:17], 4
	v_lshl_add_u64 v[30:31], v[26:27], 0, s[4:5]
	s_movk_i32 s8, 0x3000
	global_load_dwordx4 v[24:27], v[30:31], off
	global_load_dwordx4 v[96:99], v56, s[14:15] offset:3456
	v_add_co_u32_e32 v32, vcc, s8, v58
	v_lshl_add_u64 v[30:31], v[30:31], 0, s[2:3]
	s_nop 0
	v_addc_co_u32_e32 v33, vcc, 0, v59, vcc
	s_movk_i32 s8, 0x5000
	global_load_dwordx4 v[34:37], v[30:31], off
	global_load_dwordx4 v[100:103], v[32:33], off offset:384
	v_add_co_u32_e32 v54, vcc, s8, v58
	v_lshl_add_u64 v[30:31], v[30:31], 0, s[2:3]
	s_nop 0
	v_addc_co_u32_e32 v55, vcc, 0, v59, vcc
	global_load_dwordx4 v[104:107], v[54:55], off offset:1408
	s_movk_i32 s8, 0x1000
	global_load_dwordx4 v[38:41], v[30:31], off
	v_add_co_u32_e32 v64, vcc, s8, v58
	v_lshl_add_u64 v[30:31], v[30:31], 0, s[4:5]
	s_nop 0
	v_addc_co_u32_e32 v65, vcc, 0, v59, vcc
	global_load_dwordx4 v[42:45], v[30:31], off
	global_load_dwordx4 v[112:115], v[64:65], off offset:1088
	v_lshl_add_u64 v[30:31], v[30:31], 0, s[2:3]
	global_load_dwordx4 v[46:49], v[30:31], off
	global_load_dwordx4 v[108:111], v[32:33], off offset:2112
	v_lshl_add_u64 v[30:31], v[30:31], 0, s[2:3]
	;; [unrolled: 3-line block ×4, first 2 shown]
	s_movk_i32 s4, 0x6000
	global_load_dwordx4 v[64:67], v[30:31], off
	global_load_dwordx4 v[124:127], v[32:33], off offset:3840
	v_lshl_add_u64 v[32:33], v[30:31], 0, s[2:3]
	v_add_co_u32_e32 v30, vcc, s4, v58
	global_load_dwordx4 v[68:71], v[32:33], off
	s_nop 0
	v_addc_co_u32_e32 v31, vcc, 0, v59, vcc
	global_load_dwordx4 v[128:131], v[30:31], off offset:768
	s_load_dwordx2 s[12:13], s[0:1], 0x38
	s_load_dwordx4 s[8:11], s[6:7], 0x0
	v_cmp_gt_u16_e64 s[4:5], 36, v216
	s_waitcnt vmcnt(27)
	v_accvgpr_write_b32 a2, v76
	v_accvgpr_write_b32 a3, v77
	;; [unrolled: 1-line block ×4, first 2 shown]
	s_waitcnt vmcnt(24)
	v_mul_f64 v[72:73], v[6:7], v[134:135]
	v_fmac_f64_e32 v[72:73], v[4:5], v[132:133]
	v_mul_f64 v[4:5], v[4:5], v[134:135]
	v_fma_f64 v[74:75], v[6:7], v[132:133], -v[4:5]
	s_waitcnt vmcnt(22)
	v_mul_f64 v[4:5], v[2:3], v[94:95]
	v_fmac_f64_e32 v[4:5], v[0:1], v[92:93]
	v_mul_f64 v[0:1], v[0:1], v[94:95]
	v_fma_f64 v[6:7], v[2:3], v[92:93], -v[0:1]
	v_mul_f64 v[0:1], v[10:11], v[78:79]
	v_mul_f64 v[2:3], v[8:9], v[78:79]
	v_fmac_f64_e32 v[0:1], v[8:9], v[76:77]
	v_fma_f64 v[2:3], v[10:11], v[76:77], -v[2:3]
	ds_write_b128 v56, v[0:3] offset:18432
	v_mul_f64 v[0:1], v[14:15], v[82:83]
	v_mul_f64 v[2:3], v[12:13], v[82:83]
	v_fmac_f64_e32 v[0:1], v[12:13], v[80:81]
	v_fma_f64 v[2:3], v[14:15], v[80:81], -v[2:3]
	ds_write_b128 v56, v[0:3] offset:1728
	s_waitcnt vmcnt(20)
	v_mul_f64 v[0:1], v[22:23], v[86:87]
	v_mul_f64 v[2:3], v[20:21], v[86:87]
	v_fmac_f64_e32 v[0:1], v[20:21], v[84:85]
	v_fma_f64 v[2:3], v[22:23], v[84:85], -v[2:3]
	ds_write_b128 v56, v[0:3] offset:10944
	s_waitcnt vmcnt(18)
	v_mul_f64 v[0:1], v[18:19], v[90:91]
	v_mul_f64 v[2:3], v[16:17], v[90:91]
	v_fmac_f64_e32 v[0:1], v[16:17], v[88:89]
	v_fma_f64 v[2:3], v[18:19], v[88:89], -v[2:3]
	ds_write_b128 v56, v[0:3] offset:20160
	s_waitcnt vmcnt(16)
	v_mul_f64 v[0:1], v[26:27], v[98:99]
	v_mul_f64 v[2:3], v[24:25], v[98:99]
	v_fmac_f64_e32 v[0:1], v[24:25], v[96:97]
	v_fma_f64 v[2:3], v[26:27], v[96:97], -v[2:3]
	ds_write_b128 v56, v[0:3] offset:3456
	s_waitcnt vmcnt(14)
	v_mul_f64 v[0:1], v[36:37], v[102:103]
	v_mul_f64 v[2:3], v[34:35], v[102:103]
	v_fmac_f64_e32 v[0:1], v[34:35], v[100:101]
	v_fma_f64 v[2:3], v[36:37], v[100:101], -v[2:3]
	ds_write_b128 v56, v[0:3] offset:12672
	s_waitcnt vmcnt(12)
	v_mul_f64 v[0:1], v[40:41], v[106:107]
	v_mul_f64 v[2:3], v[38:39], v[106:107]
	v_fmac_f64_e32 v[0:1], v[38:39], v[104:105]
	v_fma_f64 v[2:3], v[40:41], v[104:105], -v[2:3]
	ds_write_b128 v56, v[0:3] offset:21888
	v_accvgpr_write_b32 a60, v132
	v_accvgpr_write_b32 a18, v92
	s_waitcnt vmcnt(10)
	v_mul_f64 v[0:1], v[44:45], v[114:115]
	v_mul_f64 v[2:3], v[42:43], v[114:115]
	v_fmac_f64_e32 v[0:1], v[42:43], v[112:113]
	v_fma_f64 v[2:3], v[44:45], v[112:113], -v[2:3]
	ds_write_b128 v56, v[0:3] offset:5184
	s_waitcnt vmcnt(8)
	v_mul_f64 v[0:1], v[48:49], v[110:111]
	v_mul_f64 v[2:3], v[46:47], v[110:111]
	v_fmac_f64_e32 v[0:1], v[46:47], v[108:109]
	v_fma_f64 v[2:3], v[48:49], v[108:109], -v[2:3]
	ds_write_b128 v56, v[0:3] offset:14400
	;; [unrolled: 6-line block ×4, first 2 shown]
	s_waitcnt vmcnt(2)
	v_mul_f64 v[0:1], v[66:67], v[126:127]
	v_mul_f64 v[2:3], v[64:65], v[126:127]
	v_fmac_f64_e32 v[0:1], v[64:65], v[124:125]
	v_fma_f64 v[2:3], v[66:67], v[124:125], -v[2:3]
	v_accvgpr_write_b32 a6, v80
	v_accvgpr_write_b32 a10, v84
	;; [unrolled: 1-line block ×11, first 2 shown]
	ds_write_b128 v56, v[0:3] offset:16128
	s_waitcnt vmcnt(0)
	v_mul_f64 v[0:1], v[70:71], v[130:131]
	v_mul_f64 v[2:3], v[68:69], v[130:131]
	v_accvgpr_write_b32 a56, v128
	v_accvgpr_write_b32 a61, v133
	;; [unrolled: 1-line block ×40, first 2 shown]
	v_fmac_f64_e32 v[0:1], v[68:69], v[128:129]
	v_accvgpr_write_b32 a57, v129
	v_accvgpr_write_b32 a58, v130
	;; [unrolled: 1-line block ×3, first 2 shown]
	v_fma_f64 v[2:3], v[70:71], v[128:129], -v[2:3]
	ds_write_b128 v56, v[72:75]
	ds_write_b128 v56, v[4:7] offset:9216
	ds_write_b128 v56, v[0:3] offset:25344
	s_and_saveexec_b64 s[6:7], s[4:5]
	s_cbranch_execz .LBB0_3
; %bb.2:
	v_add_co_u32_e32 v4, vcc, 0x2000, v58
	v_lshl_add_u64 v[8:9], s[16:17], 4, v[32:33]
	s_nop 0
	v_addc_co_u32_e32 v5, vcc, 0, v59, vcc
	global_load_dwordx4 v[0:3], v[8:9], off
	v_lshl_add_u64 v[16:17], v[8:9], 0, s[2:3]
	global_load_dwordx4 v[4:7], v[4:5], off offset:448
	s_nop 0
	global_load_dwordx4 v[8:11], v[16:17], off
	global_load_dwordx4 v[12:15], v[28:29], off offset:1472
	v_lshl_add_u64 v[24:25], v[16:17], 0, s[2:3]
	global_load_dwordx4 v[16:19], v[30:31], off offset:2496
	global_load_dwordx4 v[20:23], v[24:25], off
	s_waitcnt vmcnt(4)
	v_mul_f64 v[24:25], v[2:3], v[6:7]
	v_mul_f64 v[26:27], v[0:1], v[6:7]
	v_fmac_f64_e32 v[24:25], v[0:1], v[4:5]
	v_fma_f64 v[26:27], v[2:3], v[4:5], -v[26:27]
	s_waitcnt vmcnt(0)
	v_mul_f64 v[0:1], v[22:23], v[18:19]
	v_mul_f64 v[2:3], v[20:21], v[18:19]
	;; [unrolled: 1-line block ×4, first 2 shown]
	v_fmac_f64_e32 v[0:1], v[20:21], v[16:17]
	v_fma_f64 v[2:3], v[22:23], v[16:17], -v[2:3]
	v_fmac_f64_e32 v[6:7], v[8:9], v[12:13]
	v_fma_f64 v[8:9], v[10:11], v[12:13], -v[14:15]
	ds_write_b128 v56, v[24:27] offset:8640
	ds_write_b128 v56, v[6:9] offset:17856
	ds_write_b128 v56, v[0:3] offset:27072
.LBB0_3:
	s_or_b64 exec, exec, s[6:7]
	s_waitcnt lgkmcnt(0)
	s_barrier
	ds_read_b128 v[12:15], v56
	ds_read_b128 v[60:63], v56 offset:1728
	ds_read_b128 v[40:43], v56 offset:18432
	;; [unrolled: 1-line block ×14, first 2 shown]
                                        ; implicit-def: $vgpr124_vgpr125
                                        ; implicit-def: $vgpr16_vgpr17
                                        ; implicit-def: $vgpr28_vgpr29
	s_and_saveexec_b64 s[2:3], s[4:5]
	s_cbranch_execz .LBB0_5
; %bb.4:
	ds_read_b128 v[124:127], v56 offset:8640
	ds_read_b128 v[16:19], v56 offset:17856
	;; [unrolled: 1-line block ×3, first 2 shown]
.LBB0_5:
	s_or_b64 exec, exec, s[2:3]
	s_mov_b64 s[2:3], 0x6c
	v_lshl_add_u64 v[50:51], v[216:217], 0, s[2:3]
	s_mov_b64 s[2:3], 0xd8
	v_lshl_add_u64 v[48:49], v[216:217], 0, s[2:3]
	s_mov_b64 s[2:3], 0x21c
	s_waitcnt lgkmcnt(4)
	v_add_f64 v[54:55], v[12:13], v[44:45]
	v_lshl_add_u64 v[52:53], v[216:217], 0, s[2:3]
	v_add_f64 v[76:77], v[54:55], v[40:41]
	v_add_f64 v[54:55], v[44:45], v[40:41]
	s_mov_b32 s2, 0xe8584caa
	v_fmac_f64_e32 v[12:13], -0.5, v[54:55]
	v_add_f64 v[54:55], v[46:47], -v[42:43]
	s_mov_b32 s3, 0x3febb67a
	s_mov_b32 s7, 0xbfebb67a
	;; [unrolled: 1-line block ×3, first 2 shown]
	v_fma_f64 v[80:81], s[2:3], v[54:55], v[12:13]
	v_fmac_f64_e32 v[12:13], s[6:7], v[54:55]
	v_add_f64 v[54:55], v[14:15], v[46:47]
	v_add_f64 v[78:79], v[54:55], v[42:43]
	v_add_f64 v[42:43], v[46:47], v[42:43]
	v_fmac_f64_e32 v[14:15], -0.5, v[42:43]
	v_add_f64 v[40:41], v[44:45], -v[40:41]
	v_add_f64 v[42:43], v[36:37], v[32:33]
	v_fma_f64 v[82:83], s[6:7], v[40:41], v[14:15]
	v_fmac_f64_e32 v[14:15], s[2:3], v[40:41]
	v_add_f64 v[40:41], v[60:61], v[36:37]
	v_fmac_f64_e32 v[60:61], -0.5, v[42:43]
	v_add_f64 v[42:43], v[38:39], -v[34:35]
	v_fma_f64 v[44:45], s[2:3], v[42:43], v[60:61]
	v_fmac_f64_e32 v[60:61], s[6:7], v[42:43]
	v_add_f64 v[42:43], v[62:63], v[38:39]
	v_add_f64 v[42:43], v[42:43], v[34:35]
	;; [unrolled: 1-line block ×4, first 2 shown]
	v_fmac_f64_e32 v[62:63], -0.5, v[34:35]
	v_add_f64 v[32:33], v[36:37], -v[32:33]
	v_add_f64 v[34:35], v[68:69], v[72:73]
	v_fma_f64 v[46:47], s[6:7], v[32:33], v[62:63]
	v_fmac_f64_e32 v[62:63], s[2:3], v[32:33]
	v_add_f64 v[32:33], v[8:9], v[68:69]
	v_fmac_f64_e32 v[8:9], -0.5, v[34:35]
	v_add_f64 v[34:35], v[70:71], -v[74:75]
	v_add_f64 v[38:39], v[70:71], v[74:75]
	v_fma_f64 v[36:37], s[2:3], v[34:35], v[8:9]
	v_fmac_f64_e32 v[8:9], s[6:7], v[34:35]
	v_add_f64 v[34:35], v[10:11], v[70:71]
	v_fmac_f64_e32 v[10:11], -0.5, v[38:39]
	v_add_f64 v[54:55], v[68:69], -v[72:73]
	v_fma_f64 v[38:39], s[6:7], v[54:55], v[10:11]
	v_fmac_f64_e32 v[10:11], s[2:3], v[54:55]
	s_waitcnt lgkmcnt(2)
	v_add_f64 v[54:55], v[0:1], v[64:65]
	v_add_f64 v[68:69], v[54:55], v[4:5]
	;; [unrolled: 1-line block ×3, first 2 shown]
	v_fmac_f64_e32 v[0:1], -0.5, v[54:55]
	v_add_f64 v[54:55], v[66:67], -v[6:7]
	v_add_f64 v[32:33], v[32:33], v[72:73]
	v_fma_f64 v[72:73], s[2:3], v[54:55], v[0:1]
	v_fmac_f64_e32 v[0:1], s[6:7], v[54:55]
	v_add_f64 v[54:55], v[2:3], v[66:67]
	v_add_f64 v[70:71], v[54:55], v[6:7]
	v_add_f64 v[6:7], v[66:67], v[6:7]
	v_fmac_f64_e32 v[2:3], -0.5, v[6:7]
	v_add_f64 v[4:5], v[64:65], -v[4:5]
	v_add_f64 v[34:35], v[34:35], v[74:75]
	v_fma_f64 v[74:75], s[6:7], v[4:5], v[2:3]
	v_fmac_f64_e32 v[2:3], s[2:3], v[4:5]
	s_waitcnt lgkmcnt(1)
	v_add_f64 v[4:5], v[120:121], v[20:21]
	s_waitcnt lgkmcnt(0)
	v_add_f64 v[128:129], v[4:5], v[24:25]
	v_add_f64 v[4:5], v[20:21], v[24:25]
	v_fmac_f64_e32 v[120:121], -0.5, v[4:5]
	v_add_f64 v[6:7], v[22:23], -v[26:27]
	v_fma_f64 v[4:5], s[2:3], v[6:7], v[120:121]
	v_fmac_f64_e32 v[120:121], s[6:7], v[6:7]
	v_add_f64 v[6:7], v[122:123], v[22:23]
	v_add_f64 v[130:131], v[6:7], v[26:27]
	v_add_f64 v[6:7], v[22:23], v[26:27]
	v_fmac_f64_e32 v[122:123], -0.5, v[6:7]
	v_add_f64 v[20:21], v[20:21], -v[24:25]
	v_fma_f64 v[6:7], s[6:7], v[20:21], v[122:123]
	v_fmac_f64_e32 v[122:123], s[2:3], v[20:21]
	v_add_f64 v[20:21], v[124:125], v[16:17]
	;; [unrolled: 7-line block ×3, first 2 shown]
	v_add_f64 v[18:19], v[18:19], v[30:31]
	v_fmac_f64_e32 v[126:127], -0.5, v[18:19]
	v_add_f64 v[16:17], v[16:17], -v[28:29]
	v_fma_f64 v[142:143], s[6:7], v[16:17], v[126:127]
	v_fmac_f64_e32 v[126:127], s[2:3], v[16:17]
	v_mul_lo_u16_e32 v16, 3, v216
	v_lshlrev_b32_e32 v16, 4, v16
	s_barrier
	ds_write_b128 v16, v[76:79]
	ds_write_b128 v16, v[80:83] offset:16
	ds_write_b128 v16, v[12:15] offset:32
	v_mul_u32_u24_e32 v12, 3, v50
	v_lshlrev_b32_e32 v12, 4, v12
	ds_write_b128 v12, v[40:43]
	ds_write_b128 v12, v[44:47] offset:16
	ds_write_b128 v12, v[60:63] offset:32
	v_mov_b32_e32 v62, v12
	v_mul_u32_u24_e32 v12, 3, v48
	v_add_u32_e32 v49, 0x144, v216
	v_lshlrev_b32_e32 v63, 4, v12
	ds_write_b128 v63, v[32:35]
	ds_write_b128 v63, v[36:39] offset:16
	ds_write_b128 v63, v[8:11] offset:32
	v_mul_u32_u24_e32 v8, 3, v49
	s_load_dwordx2 s[0:1], s[0:1], 0x8
	v_add_u32_e32 v51, 0x1b0, v216
	v_lshlrev_b32_e32 v8, 4, v8
	ds_write_b128 v8, v[68:71]
	ds_write_b128 v8, v[72:75] offset:16
	ds_write_b128 v8, v[0:3] offset:32
	v_mul_u32_u24_e32 v0, 3, v51
	v_lshlrev_b32_e32 v0, 4, v0
	ds_write_b128 v0, v[128:131]
	ds_write_b128 v0, v[4:7] offset:16
	v_accvgpr_write_b32 a64, v0
	ds_write_b128 v0, v[120:123] offset:32
	v_mul_u32_u24_e32 v0, 3, v52
	v_add_f64 v[134:135], v[20:21], v[30:31]
	v_accvgpr_write_b32 a1, v16
	v_accvgpr_write_b32 a55, v8
	;; [unrolled: 1-line block ×3, first 2 shown]
	s_and_saveexec_b64 s[2:3], s[4:5]
	s_cbranch_execz .LBB0_7
; %bb.6:
	v_accvgpr_read_b32 v0, a65
	v_lshlrev_b32_e32 v0, 4, v0
	ds_write_b128 v0, v[132:135]
	ds_write_b128 v0, v[140:143] offset:16
	ds_write_b128 v0, v[124:127] offset:32
.LBB0_7:
	s_or_b64 exec, exec, s[2:3]
	s_waitcnt lgkmcnt(0)
	s_barrier
	ds_read_b128 v[136:139], v56
	ds_read_b128 v[0:3], v56 offset:1728
	ds_read_b128 v[180:183], v56 offset:4608
	;; [unrolled: 1-line block ×11, first 2 shown]
	s_movk_i32 s2, 0x48
	v_cmp_gt_u16_e64 s[2:3], s2, v216
	s_and_saveexec_b64 s[6:7], s[2:3]
	s_cbranch_execz .LBB0_9
; %bb.8:
	ds_read_b128 v[128:131], v56 offset:3456
	ds_read_b128 v[4:7], v56 offset:8064
	;; [unrolled: 1-line block ×6, first 2 shown]
.LBB0_9:
	s_or_b64 exec, exec, s[6:7]
	s_movk_i32 s16, 0xab
	v_mul_lo_u16_sdwa v8, v216, s16 dst_sel:DWORD dst_unused:UNUSED_PAD src0_sel:BYTE_0 src1_sel:DWORD
	v_mul_lo_u16_sdwa v12, v50, s16 dst_sel:DWORD dst_unused:UNUSED_PAD src0_sel:BYTE_0 src1_sel:DWORD
	v_lshrrev_b16_e32 v10, 9, v8
	v_lshrrev_b16_e32 v12, 9, v12
	v_mul_lo_u16_e32 v8, 3, v10
	v_mul_lo_u16_e32 v13, 3, v12
	v_sub_u16_e32 v8, v216, v8
	v_sub_u16_e32 v13, v50, v13
	v_and_b32_e32 v11, 0xff, v8
	s_movk_i32 s17, 0x50
	v_mov_b64_e32 v[8:9], s[0:1]
	v_and_b32_e32 v13, 0xff, v13
	v_mad_u64_u32 v[14:15], s[6:7], v11, s17, v[8:9]
	v_mad_u64_u32 v[8:9], s[6:7], v13, s17, v[8:9]
	s_mov_b32 s6, 0xaaab
	global_load_dwordx4 v[72:75], v[14:15], off
	global_load_dwordx4 v[68:71], v[14:15], off offset:16
	global_load_dwordx4 v[42:45], v[14:15], off offset:48
	;; [unrolled: 1-line block ×4, first 2 shown]
	v_mul_u32_u24_sdwa v14, v48, s6 dst_sel:DWORD dst_unused:UNUSED_PAD src0_sel:WORD_0 src1_sel:DWORD
	v_lshrrev_b32_e32 v49, 17, v14
	v_mul_lo_u16_e32 v14, 3, v49
	v_sub_u16_e32 v51, v48, v14
	global_load_dwordx4 v[88:91], v[8:9], off
	global_load_dwordx4 v[84:87], v[8:9], off offset:16
	global_load_dwordx4 v[80:83], v[8:9], off offset:32
	v_mov_b32_e32 v15, 0
	global_load_dwordx4 v[92:95], v[8:9], off offset:48
	global_load_dwordx4 v[96:99], v[8:9], off offset:64
	v_mul_lo_u16_e32 v14, 0x50, v51
	v_lshl_add_u64 v[8:9], s[0:1], 0, v[14:15]
	global_load_dwordx4 v[112:115], v[8:9], off
	global_load_dwordx4 v[108:111], v[8:9], off offset:16
	global_load_dwordx4 v[104:107], v[8:9], off offset:32
	;; [unrolled: 1-line block ×4, first 2 shown]
	s_mov_b32 s16, 0xe8584caa
	s_mov_b32 s17, 0x3febb67a
	;; [unrolled: 1-line block ×4, first 2 shown]
	s_waitcnt lgkmcnt(0)
	s_barrier
	s_waitcnt vmcnt(14)
	v_mul_f64 v[8:9], v[182:183], v[74:75]
	s_waitcnt vmcnt(13)
	v_mul_f64 v[14:15], v[178:179], v[70:71]
	;; [unrolled: 2-line block ×3, first 2 shown]
	v_mul_f64 v[26:27], v[168:169], v[44:45]
	v_accvgpr_write_b32 a69, v45
	v_fma_f64 v[32:33], v[180:181], v[72:73], -v[8:9]
	v_fma_f64 v[22:23], v[168:169], v[42:43], -v[22:23]
	s_waitcnt vmcnt(9)
	v_mul_f64 v[46:47], v[160:161], v[90:91]
	s_waitcnt vmcnt(8)
	v_mul_f64 v[34:35], v[158:159], v[86:87]
	v_mul_f64 v[8:9], v[162:163], v[90:91]
	v_mul_f64 v[38:39], v[156:157], v[86:87]
	s_waitcnt vmcnt(7)
	v_mul_f64 v[36:37], v[154:155], v[82:83]
	v_accvgpr_write_b32 a68, v44
	v_accvgpr_write_b32 a67, v43
	;; [unrolled: 1-line block ×3, first 2 shown]
	v_fmac_f64_e32 v[26:27], v[170:171], v[42:43]
	s_waitcnt vmcnt(6)
	v_mul_f64 v[42:43], v[146:147], v[94:95]
	v_fmac_f64_e32 v[46:47], v[162:163], v[88:89]
	s_waitcnt vmcnt(4)
	v_mul_f64 v[162:163], v[6:7], v[114:115]
	v_fma_f64 v[156:157], v[156:157], v[84:85], -v[34:35]
	s_waitcnt vmcnt(3)
	v_mul_f64 v[34:35], v[122:123], v[110:111]
	v_mul_f64 v[16:17], v[176:177], v[70:71]
	v_fma_f64 v[14:15], v[176:177], v[68:69], -v[14:15]
	v_mul_f64 v[40:41], v[152:153], v[82:83]
	v_mul_f64 v[44:45], v[144:145], v[94:95]
	;; [unrolled: 1-line block ×3, first 2 shown]
	v_fma_f64 v[160:161], v[160:161], v[88:89], -v[8:9]
	v_mul_f64 v[8:9], v[4:5], v[114:115]
	v_fma_f64 v[152:153], v[152:153], v[80:81], -v[36:37]
	s_waitcnt vmcnt(2)
	v_mul_f64 v[36:37], v[134:135], v[106:107]
	v_fma_f64 v[42:43], v[144:145], v[92:93], -v[42:43]
	v_fma_f64 v[144:145], v[4:5], v[112:113], -v[162:163]
	;; [unrolled: 1-line block ×3, first 2 shown]
	s_waitcnt vmcnt(1)
	v_mul_f64 v[34:35], v[142:143], v[102:103]
	v_fmac_f64_e32 v[16:17], v[178:179], v[68:69]
	v_mul_f64 v[54:55], v[148:149], v[98:99]
	v_fma_f64 v[52:53], v[148:149], v[96:97], -v[52:53]
	v_fmac_f64_e32 v[8:9], v[6:7], v[112:113]
	v_fma_f64 v[6:7], v[132:133], v[104:105], -v[36:37]
	v_fma_f64 v[148:149], v[140:141], v[100:101], -v[34:35]
	v_mul_f64 v[140:141], v[140:141], v[102:103]
	s_waitcnt vmcnt(0)
	v_mul_f64 v[34:35], v[126:127], v[118:119]
	v_add_f64 v[36:37], v[14:15], v[22:23]
	v_fmac_f64_e32 v[140:141], v[142:143], v[100:101]
	v_fma_f64 v[142:143], v[124:125], v[116:117], -v[34:35]
	v_add_f64 v[34:35], v[136:137], v[14:15]
	v_fmac_f64_e32 v[136:137], -0.5, v[36:37]
	v_add_f64 v[36:37], v[16:17], -v[26:27]
	v_mul_f64 v[18:19], v[174:175], v[66:67]
	v_fmac_f64_e32 v[38:39], v[158:159], v[84:85]
	v_mul_f64 v[158:159], v[120:121], v[110:111]
	v_fma_f64 v[120:121], s[16:17], v[36:37], v[136:137]
	v_fmac_f64_e32 v[136:137], s[6:7], v[36:37]
	v_add_f64 v[36:37], v[138:139], v[16:17]
	v_add_f64 v[16:17], v[16:17], v[26:27]
	v_mul_f64 v[28:29], v[166:167], v[78:79]
	v_fma_f64 v[18:19], v[172:173], v[64:65], -v[18:19]
	v_fmac_f64_e32 v[138:139], -0.5, v[16:17]
	v_add_f64 v[14:15], v[14:15], -v[22:23]
	v_mul_f64 v[20:21], v[172:173], v[66:67]
	v_mul_f64 v[30:31], v[164:165], v[78:79]
	v_fma_f64 v[28:29], v[164:165], v[76:77], -v[28:29]
	v_fmac_f64_e32 v[158:159], v[122:123], v[108:109]
	v_fma_f64 v[122:123], s[6:7], v[14:15], v[138:139]
	v_fmac_f64_e32 v[138:139], s[16:17], v[14:15]
	v_add_f64 v[14:15], v[32:33], v[18:19]
	v_mul_f64 v[24:25], v[180:181], v[74:75]
	v_fmac_f64_e32 v[20:21], v[174:175], v[64:65]
	v_fmac_f64_e32 v[30:31], v[166:167], v[76:77]
	v_add_f64 v[36:37], v[36:37], v[26:27]
	v_add_f64 v[26:27], v[14:15], v[28:29]
	;; [unrolled: 1-line block ×3, first 2 shown]
	v_fmac_f64_e32 v[24:25], v[182:183], v[72:73]
	v_fmac_f64_e32 v[32:33], -0.5, v[14:15]
	v_add_f64 v[14:15], v[20:21], -v[30:31]
	v_fmac_f64_e32 v[54:55], v[150:151], v[96:97]
	v_mul_f64 v[150:151], v[124:125], v[118:119]
	v_fma_f64 v[124:125], s[16:17], v[14:15], v[32:33]
	v_fmac_f64_e32 v[32:33], s[6:7], v[14:15]
	v_add_f64 v[14:15], v[24:25], v[20:21]
	v_fmac_f64_e32 v[150:151], v[126:127], v[116:117]
	v_add_f64 v[126:127], v[14:15], v[30:31]
	v_add_f64 v[14:15], v[20:21], v[30:31]
	v_fmac_f64_e32 v[24:25], -0.5, v[14:15]
	v_add_f64 v[14:15], v[18:19], -v[28:29]
	v_fma_f64 v[20:21], s[6:7], v[14:15], v[24:25]
	v_mul_f64 v[28:29], v[20:21], s[16:17]
	v_fmac_f64_e32 v[44:45], v[146:147], v[92:93]
	v_mul_f64 v[146:147], v[132:133], v[106:107]
	v_fmac_f64_e32 v[24:25], s[16:17], v[14:15]
	v_fmac_f64_e32 v[28:29], 0.5, v[124:125]
	v_mul_f64 v[124:125], v[124:125], s[6:7]
	v_fmac_f64_e32 v[146:147], v[134:135], v[104:105]
	v_fmac_f64_e32 v[124:125], 0.5, v[20:21]
	v_mul_f64 v[134:135], v[24:25], -0.5
	v_mul_f64 v[132:133], v[32:33], -0.5
	v_add_f64 v[20:21], v[122:123], v[124:125]
	v_fmac_f64_e32 v[134:135], s[6:7], v[32:33]
	v_add_f64 v[32:33], v[122:123], -v[124:125]
	v_add_f64 v[122:123], v[156:157], v[42:43]
	v_add_f64 v[18:19], v[120:121], v[28:29]
	v_add_f64 v[30:31], v[120:121], -v[28:29]
	v_add_f64 v[120:121], v[0:1], v[156:157]
	v_fmac_f64_e32 v[0:1], -0.5, v[122:123]
	v_add_f64 v[122:123], v[38:39], -v[44:45]
	v_fma_f64 v[124:125], s[16:17], v[122:123], v[0:1]
	v_fmac_f64_e32 v[0:1], s[6:7], v[122:123]
	v_add_f64 v[122:123], v[2:3], v[38:39]
	v_add_f64 v[38:39], v[38:39], v[44:45]
	v_fmac_f64_e32 v[2:3], -0.5, v[38:39]
	v_add_f64 v[38:39], v[156:157], -v[42:43]
	v_add_f64 v[34:35], v[34:35], v[22:23]
	v_fmac_f64_e32 v[132:133], s[16:17], v[24:25]
	v_add_f64 v[16:17], v[36:37], v[126:127]
	v_add_f64 v[28:29], v[36:37], -v[126:127]
	v_fma_f64 v[126:127], s[6:7], v[38:39], v[2:3]
	v_fmac_f64_e32 v[2:3], s[16:17], v[38:39]
	v_add_f64 v[38:39], v[160:161], v[152:153]
	v_fmac_f64_e32 v[40:41], v[154:155], v[80:81]
	v_add_f64 v[14:15], v[34:35], v[26:27]
	v_add_f64 v[22:23], v[136:137], v[132:133]
	v_add_f64 v[26:27], v[34:35], -v[26:27]
	v_add_f64 v[34:35], v[136:137], -v[132:133]
	v_add_f64 v[132:133], v[38:39], v[52:53]
	v_add_f64 v[38:39], v[152:153], v[52:53]
	v_fmac_f64_e32 v[160:161], -0.5, v[38:39]
	v_add_f64 v[38:39], v[40:41], -v[54:55]
	v_add_f64 v[122:123], v[122:123], v[44:45]
	v_fma_f64 v[44:45], s[16:17], v[38:39], v[160:161]
	v_fmac_f64_e32 v[160:161], s[6:7], v[38:39]
	v_add_f64 v[38:39], v[46:47], v[40:41]
	v_add_f64 v[24:25], v[138:139], v[134:135]
	v_add_f64 v[36:37], v[138:139], -v[134:135]
	v_add_f64 v[134:135], v[38:39], v[54:55]
	v_add_f64 v[38:39], v[40:41], v[54:55]
	v_fmac_f64_e32 v[46:47], -0.5, v[38:39]
	v_add_f64 v[38:39], v[152:153], -v[52:53]
	v_fma_f64 v[54:55], s[6:7], v[38:39], v[46:47]
	v_fmac_f64_e32 v[46:47], s[16:17], v[38:39]
	v_mul_f64 v[138:139], v[160:161], -0.5
	v_add_f64 v[120:121], v[120:121], v[42:43]
	v_fmac_f64_e32 v[138:139], s[16:17], v[46:47]
	v_mul_f64 v[46:47], v[46:47], -0.5
	v_add_f64 v[38:39], v[120:121], v[132:133]
	v_add_f64 v[52:53], v[0:1], v[138:139]
	v_mul_f64 v[152:153], v[44:45], s[6:7]
	v_fmac_f64_e32 v[46:47], s[6:7], v[160:161]
	v_add_f64 v[120:121], v[120:121], -v[132:133]
	v_add_f64 v[132:133], v[0:1], -v[138:139]
	v_add_f64 v[0:1], v[128:129], v[4:5]
	v_mul_f64 v[136:137], v[54:55], s[16:17]
	v_add_f64 v[40:41], v[122:123], v[134:135]
	v_fmac_f64_e32 v[152:153], 0.5, v[54:55]
	v_add_f64 v[54:55], v[2:3], v[46:47]
	v_add_f64 v[122:123], v[122:123], -v[134:135]
	v_add_f64 v[134:135], v[2:3], -v[46:47]
	v_add_f64 v[46:47], v[0:1], v[148:149]
	v_add_f64 v[0:1], v[4:5], v[148:149]
	v_fmac_f64_e32 v[136:137], 0.5, v[44:45]
	v_fmac_f64_e32 v[128:129], -0.5, v[0:1]
	v_add_f64 v[0:1], v[158:159], -v[140:141]
	v_add_f64 v[42:43], v[124:125], v[136:137]
	v_add_f64 v[124:125], v[124:125], -v[136:137]
	v_fma_f64 v[136:137], s[16:17], v[0:1], v[128:129]
	v_fmac_f64_e32 v[128:129], s[6:7], v[0:1]
	v_add_f64 v[0:1], v[130:131], v[158:159]
	v_add_f64 v[138:139], v[0:1], v[140:141]
	;; [unrolled: 1-line block ×3, first 2 shown]
	v_fmac_f64_e32 v[130:131], -0.5, v[0:1]
	v_add_f64 v[0:1], v[4:5], -v[148:149]
	v_fma_f64 v[140:141], s[6:7], v[0:1], v[130:131]
	v_fmac_f64_e32 v[130:131], s[16:17], v[0:1]
	v_add_f64 v[0:1], v[144:145], v[6:7]
	v_add_f64 v[148:149], v[0:1], v[142:143]
	;; [unrolled: 1-line block ×3, first 2 shown]
	v_fmac_f64_e32 v[144:145], -0.5, v[0:1]
	v_add_f64 v[0:1], v[146:147], -v[150:151]
	v_fma_f64 v[2:3], s[16:17], v[0:1], v[144:145]
	v_fmac_f64_e32 v[144:145], s[6:7], v[0:1]
	v_add_f64 v[0:1], v[8:9], v[146:147]
	v_add_f64 v[44:45], v[126:127], v[152:153]
	v_add_f64 v[126:127], v[126:127], -v[152:153]
	v_add_f64 v[152:153], v[0:1], v[150:151]
	v_add_f64 v[0:1], v[146:147], v[150:151]
	v_fmac_f64_e32 v[8:9], -0.5, v[0:1]
	v_add_f64 v[0:1], v[6:7], -v[142:143]
	v_fma_f64 v[6:7], s[6:7], v[0:1], v[8:9]
	v_fmac_f64_e32 v[8:9], s[16:17], v[0:1]
	v_mul_f64 v[146:147], v[144:145], -0.5
	v_fmac_f64_e32 v[146:147], s[16:17], v[8:9]
	v_mul_f64 v[8:9], v[8:9], -0.5
	v_mul_f64 v[150:151], v[2:3], s[6:7]
	v_fmac_f64_e32 v[8:9], s[6:7], v[144:145]
	v_mul_f64 v[142:143], v[6:7], s[16:17]
	v_fmac_f64_e32 v[150:151], 0.5, v[6:7]
	v_add_f64 v[6:7], v[130:131], v[8:9]
	v_add_f64 v[194:195], v[130:131], -v[8:9]
	v_mul_u32_u24_e32 v8, 18, v10
	v_add_lshl_u32 v8, v8, v11, 4
	ds_write_b128 v8, v[14:17]
	ds_write_b128 v8, v[18:21] offset:48
	ds_write_b128 v8, v[22:25] offset:96
	;; [unrolled: 1-line block ×4, first 2 shown]
	v_accvgpr_write_b32 a72, v8
	ds_write_b128 v8, v[34:37] offset:240
	v_mul_u32_u24_e32 v8, 18, v12
	v_add_lshl_u32 v8, v8, v13, 4
	v_fmac_f64_e32 v[142:143], 0.5, v[2:3]
	ds_write_b128 v8, v[38:41]
	ds_write_b128 v8, v[42:45] offset:48
	ds_write_b128 v8, v[52:55] offset:96
	;; [unrolled: 1-line block ×4, first 2 shown]
	v_accvgpr_write_b32 a73, v8
	ds_write_b128 v8, v[132:135] offset:240
	v_mad_legacy_u16 v8, v49, 18, v51
	v_add_f64 v[180:181], v[46:47], v[148:149]
	v_add_f64 v[0:1], v[136:137], v[142:143]
	;; [unrolled: 1-line block ×5, first 2 shown]
	v_add_f64 v[156:157], v[46:47], -v[148:149]
	v_add_f64 v[196:197], v[136:137], -v[142:143]
	v_add_f64 v[192:193], v[128:129], -v[146:147]
	v_add_f64 v[158:159], v[138:139], -v[152:153]
	v_add_f64 v[198:199], v[140:141], -v[150:151]
	v_accvgpr_write_b32 a90, v8
	s_and_saveexec_b64 s[6:7], s[2:3]
	s_cbranch_execz .LBB0_11
; %bb.10:
	v_accvgpr_read_b32 v8, a90
	v_lshlrev_b32_e32 v8, 4, v8
	ds_write_b128 v8, v[180:183]
	ds_write_b128 v8, v[0:3] offset:48
	ds_write_b128 v8, v[4:7] offset:96
	;; [unrolled: 1-line block ×5, first 2 shown]
.LBB0_11:
	s_or_b64 exec, exec, s[6:7]
	s_waitcnt lgkmcnt(0)
	s_barrier
	ds_read_b128 v[188:191], v56
	ds_read_b128 v[184:187], v56 offset:1728
	ds_read_b128 v[40:43], v56 offset:4608
	;; [unrolled: 1-line block ×11, first 2 shown]
	s_and_saveexec_b64 s[6:7], s[2:3]
	s_cbranch_execz .LBB0_13
; %bb.12:
	ds_read_b128 v[180:183], v56 offset:3456
	ds_read_b128 v[0:3], v56 offset:8064
	;; [unrolled: 1-line block ×6, first 2 shown]
.LBB0_13:
	s_or_b64 exec, exec, s[6:7]
	v_mov_b32_e32 v49, 57
	v_mul_lo_u16_sdwa v44, v216, v49 dst_sel:DWORD dst_unused:UNUSED_PAD src0_sel:BYTE_0 src1_sel:DWORD
	v_lshrrev_b16_e32 v57, 10, v44
	v_mul_lo_u16_e32 v44, 18, v57
	v_sub_u16_e32 v44, v216, v44
	v_and_b32_e32 v124, 0xff, v44
	s_movk_i32 s16, 0x50
	v_mov_b64_e32 v[52:53], s[0:1]
	v_mad_u64_u32 v[54:55], s[6:7], v124, s16, v[52:53]
	global_load_dwordx4 v[128:131], v[54:55], off offset:288
	global_load_dwordx4 v[140:143], v[54:55], off offset:272
	;; [unrolled: 1-line block ×5, first 2 shown]
	s_mov_b32 s17, 0xbfebb67a
	s_waitcnt vmcnt(2) lgkmcnt(7)
	v_mul_f64 v[46:47], v[36:37], v[146:147]
	s_waitcnt vmcnt(1)
	v_mul_f64 v[44:45], v[42:43], v[154:155]
	v_fma_f64 v[44:45], v[40:41], v[152:153], -v[44:45]
	v_mul_f64 v[40:41], v[40:41], v[154:155]
	v_fmac_f64_e32 v[40:41], v[42:43], v[152:153]
	v_mul_f64 v[42:43], v[38:39], v[146:147]
	v_fma_f64 v[42:43], v[36:37], v[144:145], -v[42:43]
	s_waitcnt lgkmcnt(5)
	v_mul_f64 v[36:37], v[34:35], v[142:143]
	v_fma_f64 v[36:37], v[32:33], v[140:141], -v[36:37]
	v_mul_f64 v[32:33], v[32:33], v[142:143]
	v_fmac_f64_e32 v[32:33], v[34:35], v[140:141]
	s_waitcnt lgkmcnt(3)
	v_mul_f64 v[34:35], v[30:31], v[130:131]
	v_fmac_f64_e32 v[46:47], v[38:39], v[144:145]
	v_fma_f64 v[34:35], v[28:29], v[128:129], -v[34:35]
	v_mul_f64 v[38:39], v[28:29], v[130:131]
	s_waitcnt vmcnt(0) lgkmcnt(1)
	v_mul_f64 v[28:29], v[26:27], v[150:151]
	v_fmac_f64_e32 v[38:39], v[30:31], v[128:129]
	v_fma_f64 v[30:31], v[24:25], v[148:149], -v[28:29]
	v_mul_f64 v[24:25], v[24:25], v[150:151]
	v_fmac_f64_e32 v[24:25], v[26:27], v[148:149]
	v_mul_lo_u16_sdwa v26, v50, v49 dst_sel:DWORD dst_unused:UNUSED_PAD src0_sel:BYTE_0 src1_sel:DWORD
	v_lshrrev_b16_e32 v125, 10, v26
	v_mul_lo_u16_e32 v26, 18, v125
	v_sub_u16_e32 v26, v50, v26
	v_and_b32_e32 v126, 0xff, v26
	v_mad_u64_u32 v[28:29], s[6:7], v126, s16, v[52:53]
	global_load_dwordx4 v[160:163], v[28:29], off offset:288
	global_load_dwordx4 v[164:167], v[28:29], off offset:272
	;; [unrolled: 1-line block ×5, first 2 shown]
	s_mov_b32 s6, 0xe38f
	v_mov_b32_e32 v29, 0
	s_waitcnt vmcnt(4)
	v_mul_f64 v[54:55], v[8:9], v[162:163]
	v_fmac_f64_e32 v[54:55], v[10:11], v[160:161]
	s_waitcnt vmcnt(2)
	v_mul_f64 v[50:51], v[16:17], v[170:171]
	s_waitcnt vmcnt(1)
	v_mul_f64 v[26:27], v[22:23], v[174:175]
	v_fma_f64 v[26:27], v[20:21], v[172:173], -v[26:27]
	v_mul_f64 v[20:21], v[20:21], v[174:175]
	v_fmac_f64_e32 v[20:21], v[22:23], v[172:173]
	v_mul_f64 v[22:23], v[18:19], v[170:171]
	v_fma_f64 v[22:23], v[16:17], v[168:169], -v[22:23]
	v_mul_f64 v[16:17], v[14:15], v[166:167]
	v_fmac_f64_e32 v[50:51], v[18:19], v[168:169]
	v_fma_f64 v[16:17], v[12:13], v[164:165], -v[16:17]
	v_mul_f64 v[18:19], v[12:13], v[166:167]
	v_mul_f64 v[12:13], v[10:11], v[162:163]
	v_fma_f64 v[52:53], v[8:9], v[160:161], -v[12:13]
	s_waitcnt vmcnt(0) lgkmcnt(0)
	v_mul_f64 v[8:9], v[122:123], v[178:179]
	v_fma_f64 v[200:201], v[120:121], v[176:177], -v[8:9]
	v_mul_u32_u24_sdwa v8, v48, s6 dst_sel:DWORD dst_unused:UNUSED_PAD src0_sel:WORD_0 src1_sel:DWORD
	v_lshrrev_b32_e32 v8, 20, v8
	v_accvgpr_write_b32 a70, v8
	v_mul_lo_u16_e32 v8, 18, v8
	v_sub_u16_e32 v8, v48, v8
	v_mul_lo_u16_e32 v28, 0x50, v8
	v_mul_f64 v[202:203], v[120:121], v[178:179]
	v_lshl_add_u64 v[48:49], s[0:1], 0, v[28:29]
	v_fmac_f64_e32 v[18:19], v[14:15], v[164:165]
	v_fmac_f64_e32 v[202:203], v[122:123], v[176:177]
	global_load_dwordx4 v[132:135], v[48:49], off offset:288
	global_load_dwordx4 v[120:123], v[48:49], off offset:272
	;; [unrolled: 1-line block ×4, first 2 shown]
	v_accvgpr_write_b32 a71, v8
	s_mov_b32 s6, 0xe8584caa
	s_mov_b32 s7, 0x3febb67a
	;; [unrolled: 1-line block ×3, first 2 shown]
	v_mul_u32_u24_e32 v28, 0x6c, v57
	v_add_lshl_u32 v28, v28, v124, 4
	v_accvgpr_write_b32 a96, v28
	s_waitcnt vmcnt(3)
	v_accvgpr_write_b32 a78, v132
	v_accvgpr_write_b32 a79, v133
	;; [unrolled: 1-line block ×3, first 2 shown]
	s_waitcnt vmcnt(0)
	v_mul_f64 v[8:9], v[2:3], v[14:15]
	v_fma_f64 v[8:9], v[0:1], v[12:13], -v[8:9]
	v_mul_f64 v[10:11], v[0:1], v[14:15]
	v_accvgpr_write_b32 a85, v15
	v_mul_f64 v[0:1], v[6:7], v[138:139]
	v_accvgpr_write_b32 a84, v14
	v_accvgpr_write_b32 a83, v13
	;; [unrolled: 1-line block ×3, first 2 shown]
	v_fmac_f64_e32 v[10:11], v[2:3], v[12:13]
	v_fma_f64 v[0:1], v[4:5], v[136:137], -v[0:1]
	v_mul_f64 v[12:13], v[4:5], v[138:139]
	v_mul_f64 v[4:5], v[198:199], v[134:135]
	;; [unrolled: 1-line block ×3, first 2 shown]
	v_fma_f64 v[4:5], v[196:197], v[132:133], -v[4:5]
	v_accvgpr_write_b32 a81, v135
	v_fmac_f64_e32 v[14:15], v[198:199], v[132:133]
	global_load_dwordx4 v[132:135], v[48:49], off offset:304
	v_fmac_f64_e32 v[12:13], v[6:7], v[136:137]
	v_mul_f64 v[2:3], v[158:159], v[122:123]
	v_mul_f64 v[6:7], v[156:157], v[122:123]
	v_accvgpr_write_b32 a74, v120
	v_fma_f64 v[2:3], v[156:157], v[120:121], -v[2:3]
	v_accvgpr_write_b32 a75, v121
	v_accvgpr_write_b32 a76, v122
	;; [unrolled: 1-line block ×3, first 2 shown]
	v_fmac_f64_e32 v[6:7], v[158:159], v[120:121]
	v_add_f64 v[122:123], v[188:189], v[42:43]
	v_add_f64 v[122:123], v[122:123], v[34:35]
	v_accvgpr_write_b32 a86, v136
	s_barrier
	v_accvgpr_write_b32 a87, v137
	v_accvgpr_write_b32 a88, v138
	;; [unrolled: 1-line block ×3, first 2 shown]
	s_waitcnt vmcnt(0)
	v_mul_f64 v[48:49], v[194:195], v[134:135]
	v_mul_f64 v[120:121], v[192:193], v[134:135]
	v_accvgpr_write_b32 a92, v132
	v_fma_f64 v[48:49], v[192:193], v[132:133], -v[48:49]
	v_accvgpr_write_b32 a93, v133
	v_accvgpr_write_b32 a94, v134
	;; [unrolled: 1-line block ×3, first 2 shown]
	v_fmac_f64_e32 v[120:121], v[194:195], v[132:133]
	v_add_f64 v[132:133], v[42:43], v[34:35]
	v_fmac_f64_e32 v[188:189], -0.5, v[132:133]
	v_add_f64 v[132:133], v[46:47], -v[38:39]
	v_fma_f64 v[134:135], s[6:7], v[132:133], v[188:189]
	v_fmac_f64_e32 v[188:189], s[16:17], v[132:133]
	v_add_f64 v[132:133], v[190:191], v[46:47]
	v_add_f64 v[132:133], v[132:133], v[38:39]
	v_add_f64 v[38:39], v[46:47], v[38:39]
	v_fmac_f64_e32 v[190:191], -0.5, v[38:39]
	v_add_f64 v[34:35], v[42:43], -v[34:35]
	v_fma_f64 v[46:47], s[16:17], v[34:35], v[190:191]
	v_fmac_f64_e32 v[190:191], s[6:7], v[34:35]
	v_add_f64 v[34:35], v[44:45], v[36:37]
	v_add_f64 v[42:43], v[34:35], v[30:31]
	;; [unrolled: 7-line block ×3, first 2 shown]
	v_add_f64 v[24:25], v[32:33], v[24:25]
	v_fmac_f64_e32 v[40:41], -0.5, v[24:25]
	v_add_f64 v[24:25], v[36:37], -v[30:31]
	v_fma_f64 v[30:31], s[16:17], v[24:25], v[40:41]
	v_fmac_f64_e32 v[40:41], s[6:7], v[24:25]
	v_mul_f64 v[204:205], v[194:195], s[16:17]
	v_mul_f64 v[24:25], v[30:31], s[6:7]
	v_fmac_f64_e32 v[204:205], 0.5, v[30:31]
	v_mul_f64 v[30:31], v[40:41], -0.5
	v_mul_f64 v[32:33], v[44:45], -0.5
	v_fmac_f64_e32 v[30:31], s[16:17], v[44:45]
	v_fmac_f64_e32 v[24:25], 0.5, v[194:195]
	v_fmac_f64_e32 v[32:33], s[6:7], v[40:41]
	v_add_f64 v[40:41], v[190:191], v[30:31]
	v_add_f64 v[190:191], v[190:191], -v[30:31]
	v_add_f64 v[30:31], v[22:23], v[52:53]
	v_add_f64 v[192:193], v[134:135], v[24:25]
	;; [unrolled: 1-line block ×4, first 2 shown]
	v_add_f64 v[196:197], v[134:135], -v[24:25]
	v_add_f64 v[44:45], v[132:133], -v[198:199]
	;; [unrolled: 1-line block ×3, first 2 shown]
	v_add_f64 v[24:25], v[184:185], v[22:23]
	v_fmac_f64_e32 v[184:185], -0.5, v[30:31]
	v_add_f64 v[30:31], v[50:51], -v[54:55]
	v_add_f64 v[46:47], v[50:51], v[54:55]
	v_add_f64 v[38:39], v[188:189], v[32:33]
	v_add_f64 v[188:189], v[188:189], -v[32:33]
	v_fma_f64 v[32:33], s[6:7], v[30:31], v[184:185]
	v_fmac_f64_e32 v[184:185], s[16:17], v[30:31]
	v_add_f64 v[30:31], v[186:187], v[50:51]
	v_fmac_f64_e32 v[186:187], -0.5, v[46:47]
	v_add_f64 v[22:23], v[22:23], -v[52:53]
	v_add_f64 v[50:51], v[16:17], v[200:201]
	v_fma_f64 v[46:47], s[16:17], v[22:23], v[186:187]
	v_fmac_f64_e32 v[186:187], s[6:7], v[22:23]
	v_add_f64 v[22:23], v[26:27], v[16:17]
	v_fmac_f64_e32 v[26:27], -0.5, v[50:51]
	v_add_f64 v[50:51], v[18:19], -v[202:203]
	v_add_f64 v[30:31], v[30:31], v[54:55]
	v_fma_f64 v[54:55], s[6:7], v[50:51], v[26:27]
	v_fmac_f64_e32 v[26:27], s[16:17], v[50:51]
	v_add_f64 v[50:51], v[20:21], v[18:19]
	v_add_f64 v[18:19], v[18:19], v[202:203]
	v_fmac_f64_e32 v[20:21], -0.5, v[18:19]
	v_add_f64 v[16:17], v[16:17], -v[200:201]
	v_fma_f64 v[18:19], s[16:17], v[16:17], v[20:21]
	v_fmac_f64_e32 v[20:21], s[6:7], v[16:17]
	v_mul_f64 v[16:17], v[18:19], s[6:7]
	v_fmac_f64_e32 v[16:17], 0.5, v[54:55]
	v_mul_f64 v[54:55], v[54:55], s[16:17]
	v_fmac_f64_e32 v[54:55], 0.5, v[18:19]
	v_mul_f64 v[18:19], v[20:21], -0.5
	v_add_f64 v[22:23], v[22:23], v[200:201]
	v_add_f64 v[200:201], v[32:33], v[16:17]
	v_mul_f64 v[132:133], v[26:27], -0.5
	v_fmac_f64_e32 v[18:19], s[16:17], v[26:27]
	v_add_f64 v[212:213], v[32:33], -v[16:17]
	v_add_f64 v[16:17], v[0:1], v[4:5]
	v_fmac_f64_e32 v[132:133], s[6:7], v[20:21]
	v_add_f64 v[206:207], v[186:187], v[18:19]
	v_add_f64 v[186:187], v[186:187], -v[18:19]
	v_fma_f64 v[18:19], -0.5, v[16:17], v[180:181]
	v_add_f64 v[20:21], v[12:13], -v[14:15]
	v_add_f64 v[24:25], v[24:25], v[52:53]
	v_fma_f64 v[16:17], s[6:7], v[20:21], v[18:19]
	v_fmac_f64_e32 v[18:19], s[16:17], v[20:21]
	v_add_f64 v[20:21], v[12:13], v[14:15]
	v_add_f64 v[34:35], v[122:123], v[42:43]
	v_add_f64 v[42:43], v[122:123], -v[42:43]
	v_add_f64 v[122:123], v[50:51], v[202:203]
	v_add_f64 v[50:51], v[24:25], v[22:23]
	v_add_f64 v[208:209], v[24:25], -v[22:23]
	v_fma_f64 v[22:23], -0.5, v[20:21], v[182:183]
	v_add_f64 v[24:25], v[0:1], -v[4:5]
	v_fma_f64 v[20:21], s[16:17], v[24:25], v[22:23]
	v_fmac_f64_e32 v[22:23], s[6:7], v[24:25]
	v_add_f64 v[24:25], v[2:3], v[48:49]
	v_add_f64 v[202:203], v[46:47], v[54:55]
	v_add_f64 v[214:215], v[46:47], -v[54:55]
	v_fma_f64 v[46:47], -0.5, v[24:25], v[8:9]
	v_add_f64 v[24:25], v[6:7], -v[120:121]
	v_add_f64 v[52:53], v[30:31], v[122:123]
	v_add_f64 v[210:211], v[30:31], -v[122:123]
	v_fma_f64 v[30:31], s[6:7], v[24:25], v[46:47]
	v_fmac_f64_e32 v[46:47], s[16:17], v[24:25]
	v_add_f64 v[24:25], v[6:7], v[120:121]
	v_fma_f64 v[32:33], -0.5, v[24:25], v[10:11]
	v_add_f64 v[24:25], v[2:3], -v[48:49]
	v_fma_f64 v[54:55], s[16:17], v[24:25], v[32:33]
	v_fmac_f64_e32 v[32:33], s[6:7], v[24:25]
	v_mul_f64 v[24:25], v[54:55], s[6:7]
	v_mul_f64 v[26:27], v[46:47], -0.5
	v_fmac_f64_e32 v[24:25], 0.5, v[30:31]
	v_fmac_f64_e32 v[26:27], s[6:7], v[32:33]
	v_mul_f64 v[30:31], v[30:31], s[16:17]
	v_mul_f64 v[32:33], v[32:33], -0.5
	v_fmac_f64_e32 v[30:31], 0.5, v[54:55]
	v_fmac_f64_e32 v[32:33], s[16:17], v[46:47]
	ds_write_b128 v28, v[34:37]
	ds_write_b128 v28, v[192:195] offset:288
	ds_write_b128 v28, v[38:41] offset:576
	;; [unrolled: 1-line block ×5, first 2 shown]
	v_mul_u32_u24_e32 v28, 0x6c, v125
	v_add_f64 v[240:241], v[16:17], -v[24:25]
	v_add_f64 v[244:245], v[18:19], -v[26:27]
	;; [unrolled: 1-line block ×4, first 2 shown]
	s_movk_i32 s16, 0x6c
	v_add_lshl_u32 v57, v28, v126, 4
	v_add_f64 v[204:205], v[184:185], v[132:133]
	v_add_f64 v[184:185], v[184:185], -v[132:133]
	ds_write_b128 v57, v[50:53]
	ds_write_b128 v57, v[200:203] offset:288
	ds_write_b128 v57, v[204:207] offset:576
	;; [unrolled: 1-line block ×5, first 2 shown]
	s_and_saveexec_b64 s[6:7], s[2:3]
	s_cbranch_execz .LBB0_15
; %bb.14:
	v_add_f64 v[0:1], v[180:181], v[0:1]
	v_add_f64 v[12:13], v[182:183], v[12:13]
	v_add_f64 v[6:7], v[10:11], v[6:7]
	v_add_f64 v[34:35], v[0:1], v[4:5]
	v_add_f64 v[0:1], v[8:9], v[2:3]
	v_add_f64 v[8:9], v[16:17], v[24:25]
	v_accvgpr_read_b32 v16, a70
	v_accvgpr_read_b32 v17, a71
	v_add_f64 v[12:13], v[12:13], v[14:15]
	v_add_f64 v[14:15], v[6:7], v[120:121]
	;; [unrolled: 1-line block ×3, first 2 shown]
	v_mad_legacy_u16 v16, v16, s16, v17
	v_add_f64 v[6:7], v[12:13], -v[14:15]
	v_add_f64 v[14:15], v[12:13], v[14:15]
	v_add_f64 v[12:13], v[34:35], v[36:37]
	v_lshlrev_b32_e32 v16, 4, v16
	v_add_f64 v[4:5], v[34:35], -v[36:37]
	v_add_f64 v[2:3], v[22:23], v[32:33]
	v_add_f64 v[10:11], v[20:21], v[30:31]
	;; [unrolled: 1-line block ×3, first 2 shown]
	ds_write_b128 v16, v[12:15]
	ds_write_b128 v16, v[8:11] offset:288
	ds_write_b128 v16, v[0:3] offset:576
	;; [unrolled: 1-line block ×5, first 2 shown]
.LBB0_15:
	s_or_b64 exec, exec, s[6:7]
	s_add_u32 s6, s14, 0x6c00
	s_movk_i32 s14, 0xf0
	v_mov_b64_e32 v[30:31], s[0:1]
	v_mad_u64_u32 v[50:51], s[0:1], v216, s14, v[30:31]
	s_waitcnt lgkmcnt(0)
	s_barrier
	ds_read_b128 v[248:251], v56
	ds_read_b128 v[32:35], v56 offset:1728
	ds_read_b128 v[40:43], v56 offset:3456
	;; [unrolled: 1-line block ×15, first 2 shown]
	global_load_dwordx4 v[180:183], v[50:51], off offset:1728
	global_load_dwordx4 v[184:187], v[50:51], off offset:1712
	;; [unrolled: 1-line block ×10, first 2 shown]
	v_mov_b32_e32 v28, v216
	global_load_dwordx4 v[216:219], v[50:51], off offset:1824
	global_load_dwordx4 v[232:235], v[50:51], off offset:1808
	s_mov_b32 s0, 0x667f3bcd
	s_addc_u32 s7, s15, 0
	s_mov_b32 s1, 0xbfe6a09e
	s_mov_b32 s15, 0x3fe6a09e
	;; [unrolled: 1-line block ×11, first 2 shown]
	s_waitcnt vmcnt(10) lgkmcnt(12)
	v_mul_f64 v[36:37], v[44:45], v[186:187]
	v_fmac_f64_e32 v[36:37], v[46:47], v[184:185]
	s_waitcnt vmcnt(8)
	v_mul_f64 v[30:31], v[34:35], v[206:207]
	v_fma_f64 v[30:31], v[32:33], v[204:205], -v[30:31]
	v_mul_f64 v[32:33], v[32:33], v[206:207]
	v_fmac_f64_e32 v[32:33], v[34:35], v[204:205]
	v_mul_f64 v[34:35], v[42:43], v[190:191]
	v_fma_f64 v[38:39], v[40:41], v[188:189], -v[34:35]
	v_mul_f64 v[34:35], v[46:47], v[186:187]
	s_waitcnt vmcnt(4) lgkmcnt(10)
	v_mul_f64 v[46:47], v[26:27], v[222:223]
	v_fma_f64 v[46:47], v[24:25], v[220:221], -v[46:47]
	v_mul_f64 v[24:25], v[24:25], v[222:223]
	v_fmac_f64_e32 v[24:25], v[26:27], v[220:221]
	s_waitcnt lgkmcnt(9)
	v_mul_f64 v[26:27], v[22:23], v[202:203]
	v_fma_f64 v[26:27], v[20:21], v[200:201], -v[26:27]
	v_mul_f64 v[48:49], v[20:21], v[202:203]
	s_waitcnt lgkmcnt(8)
	v_mul_f64 v[20:21], v[18:19], v[198:199]
	v_fma_f64 v[20:21], v[16:17], v[196:197], -v[20:21]
	v_mul_f64 v[16:17], v[16:17], v[198:199]
	v_fmac_f64_e32 v[16:17], v[18:19], v[196:197]
	s_waitcnt lgkmcnt(7)
	v_mul_f64 v[18:19], v[14:15], v[194:195]
	v_fma_f64 v[18:19], v[12:13], v[192:193], -v[18:19]
	v_mul_f64 v[12:13], v[12:13], v[194:195]
	v_fmac_f64_e32 v[12:13], v[14:15], v[192:193]
	s_waitcnt vmcnt(0) lgkmcnt(6)
	v_mul_f64 v[14:15], v[10:11], v[234:235]
	v_mul_f64 v[40:41], v[40:41], v[190:191]
	v_fma_f64 v[14:15], v[8:9], v[232:233], -v[14:15]
	v_mul_f64 v[8:9], v[8:9], v[234:235]
	v_fmac_f64_e32 v[40:41], v[42:43], v[188:189]
	v_fma_f64 v[34:35], v[44:45], v[184:185], -v[34:35]
	v_mul_f64 v[42:43], v[54:55], v[182:183]
	v_mul_f64 v[44:45], v[52:53], v[182:183]
	v_fmac_f64_e32 v[8:9], v[10:11], v[232:233]
	s_waitcnt lgkmcnt(5)
	v_mul_f64 v[10:11], v[238:239], v[218:219]
	v_fma_f64 v[42:43], v[52:53], v[180:181], -v[42:43]
	v_fmac_f64_e32 v[44:45], v[54:55], v[180:181]
	v_fmac_f64_e32 v[48:49], v[22:23], v[200:201]
	v_fma_f64 v[52:53], v[236:237], v[216:217], -v[10:11]
	v_mul_f64 v[54:55], v[236:237], v[218:219]
	s_waitcnt lgkmcnt(4)
	v_mul_f64 v[10:11], v[230:231], v[214:215]
	v_mul_f64 v[22:23], v[228:229], v[214:215]
	s_waitcnt lgkmcnt(3)
	v_mul_f64 v[120:121], v[226:227], v[210:211]
	v_mul_f64 v[122:123], v[224:225], v[210:211]
	v_fmac_f64_e32 v[54:55], v[238:239], v[216:217]
	v_fma_f64 v[10:11], v[228:229], v[212:213], -v[10:11]
	v_fmac_f64_e32 v[22:23], v[230:231], v[212:213]
	v_fma_f64 v[120:121], v[224:225], v[208:209], -v[120:121]
	v_fmac_f64_e32 v[122:123], v[226:227], v[208:209]
	global_load_dwordx4 v[224:227], v[50:51], off offset:1904
	global_load_dwordx4 v[228:231], v[50:51], off offset:1888
	;; [unrolled: 1-line block ×3, first 2 shown]
	v_add_f64 v[18:19], v[248:249], -v[18:19]
	v_add_f64 v[122:123], v[44:45], -v[122:123]
	;; [unrolled: 1-line block ×5, first 2 shown]
	v_fma_f64 v[44:45], v[44:45], 2.0, -v[122:123]
	v_add_f64 v[54:55], v[40:41], -v[54:55]
	v_add_f64 v[122:123], v[18:19], -v[122:123]
	v_fma_f64 v[132:133], v[248:249], 2.0, -v[18:19]
	v_fma_f64 v[134:135], v[250:251], 2.0, -v[12:13]
	v_fma_f64 v[42:43], v[42:43], 2.0, -v[120:121]
	v_fma_f64 v[38:39], v[38:39], 2.0, -v[52:53]
	v_fma_f64 v[40:41], v[40:41], 2.0, -v[54:55]
	v_add_f64 v[14:15], v[30:31], -v[14:15]
	v_add_f64 v[10:11], v[34:35], -v[10:11]
	v_add_f64 v[120:121], v[12:13], v[120:121]
	v_fma_f64 v[18:19], v[18:19], 2.0, -v[122:123]
	v_add_f64 v[8:9], v[32:33], -v[8:9]
	v_add_f64 v[22:23], v[36:37], -v[22:23]
	;; [unrolled: 1-line block ×4, first 2 shown]
	v_fma_f64 v[12:13], v[12:13], 2.0, -v[120:121]
	v_fma_f64 v[30:31], v[30:31], 2.0, -v[14:15]
	v_fma_f64 v[34:35], v[34:35], 2.0, -v[10:11]
	v_fma_f64 v[32:33], v[32:33], 2.0, -v[8:9]
	v_fma_f64 v[36:37], v[36:37], 2.0, -v[22:23]
	v_fma_f64 v[132:133], v[132:133], 2.0, -v[42:43]
	v_fma_f64 v[134:135], v[134:135], 2.0, -v[44:45]
	s_waitcnt vmcnt(2) lgkmcnt(0)
	v_mul_f64 v[126:127], v[252:253], v[226:227]
	v_fmac_f64_e32 v[126:127], v[254:255], v[224:225]
	s_waitcnt vmcnt(0)
	v_mul_f64 v[50:51], v[6:7], v[238:239]
	v_fma_f64 v[50:51], v[4:5], v[236:237], -v[50:51]
	v_mul_f64 v[4:5], v[4:5], v[238:239]
	v_fmac_f64_e32 v[4:5], v[6:7], v[236:237]
	v_mul_f64 v[6:7], v[2:3], v[230:231]
	v_fma_f64 v[6:7], v[0:1], v[228:229], -v[6:7]
	v_mul_f64 v[0:1], v[0:1], v[230:231]
	v_fmac_f64_e32 v[0:1], v[2:3], v[228:229]
	v_add_f64 v[0:1], v[48:49], -v[0:1]
	v_mul_f64 v[2:3], v[254:255], v[226:227]
	v_add_f64 v[6:7], v[26:27], -v[6:7]
	v_fma_f64 v[48:49], v[48:49], 2.0, -v[0:1]
	v_add_f64 v[0:1], v[52:53], -v[0:1]
	v_fma_f64 v[2:3], v[252:253], v[224:225], -v[2:3]
	v_fma_f64 v[26:27], v[26:27], 2.0, -v[6:7]
	v_add_f64 v[4:5], v[24:25], -v[4:5]
	v_add_f64 v[126:127], v[16:17], -v[126:127]
	v_add_f64 v[6:7], v[54:55], v[6:7]
	v_fma_f64 v[52:53], v[52:53], 2.0, -v[0:1]
	v_add_f64 v[50:51], v[46:47], -v[50:51]
	v_fma_f64 v[24:25], v[24:25], 2.0, -v[4:5]
	v_add_f64 v[2:3], v[20:21], -v[2:3]
	;; [unrolled: 2-line block ×3, first 2 shown]
	v_add_f64 v[48:49], v[40:41], -v[48:49]
	v_fma_f64 v[54:55], v[54:55], 2.0, -v[6:7]
	v_add_f64 v[4:5], v[14:15], -v[4:5]
	v_add_f64 v[126:127], v[10:11], -v[126:127]
	v_fma_f64 v[248:249], s[0:1], v[52:53], v[18:19]
	v_fma_f64 v[254:255], s[14:15], v[0:1], v[122:123]
	v_fma_f64 v[46:47], v[46:47], 2.0, -v[50:51]
	v_fma_f64 v[20:21], v[20:21], 2.0, -v[2:3]
	v_add_f64 v[50:51], v[8:9], v[50:51]
	v_fma_f64 v[14:15], v[14:15], 2.0, -v[4:5]
	v_add_f64 v[2:3], v[22:23], v[2:3]
	v_fma_f64 v[10:11], v[10:11], 2.0, -v[126:127]
	v_fma_f64 v[250:251], s[0:1], v[54:55], v[12:13]
	v_fmac_f64_e32 v[248:249], s[0:1], v[54:55]
	v_add_f64 v[54:55], v[42:43], -v[48:49]
	v_add_f64 v[252:253], v[44:45], v[26:27]
	v_fmac_f64_e32 v[254:255], s[0:1], v[6:7]
	v_fma_f64 v[38:39], v[38:39], 2.0, -v[26:27]
	v_fma_f64 v[8:9], v[8:9], 2.0, -v[50:51]
	;; [unrolled: 1-line block ×6, first 2 shown]
	v_fma_f64 v[122:123], s[0:1], v[10:11], v[14:15]
	v_add_f64 v[46:47], v[30:31], -v[46:47]
	v_add_f64 v[20:21], v[34:35], -v[20:21]
	v_add_f64 v[16:17], v[36:37], -v[16:17]
	v_fmac_f64_e32 v[250:251], s[14:15], v[52:53]
	v_fma_f64 v[136:137], s[14:15], v[6:7], v[120:121]
	v_fma_f64 v[138:139], s[0:1], v[22:23], v[8:9]
	v_fmac_f64_e32 v[122:123], s[0:1], v[22:23]
	v_add_f64 v[24:25], v[32:33], -v[24:25]
	v_fma_f64 v[30:31], v[30:31], 2.0, -v[46:47]
	v_fma_f64 v[34:35], v[34:35], 2.0, -v[20:21]
	;; [unrolled: 1-line block ×4, first 2 shown]
	v_fmac_f64_e32 v[136:137], s[14:15], v[0:1]
	v_fmac_f64_e32 v[138:139], s[14:15], v[10:11]
	v_fma_f64 v[12:13], v[14:15], 2.0, -v[122:123]
	v_add_f64 v[156:157], v[46:47], -v[16:17]
	v_fma_f64 v[124:125], s[14:15], v[126:127], v[4:5]
	v_fma_f64 v[40:41], v[40:41], 2.0, -v[48:49]
	v_fma_f64 v[32:33], v[32:33], 2.0, -v[24:25]
	;; [unrolled: 1-line block ×4, first 2 shown]
	v_add_f64 v[120:121], v[30:31], -v[34:35]
	v_fma_f64 v[14:15], v[8:9], 2.0, -v[138:139]
	v_add_f64 v[158:159], v[24:25], v[20:21]
	v_fma_f64 v[20:21], v[46:47], 2.0, -v[156:157]
	v_fma_f64 v[60:61], s[14:15], v[2:3], v[50:51]
	v_fmac_f64_e32 v[124:125], s[0:1], v[2:3]
	v_fma_f64 v[8:9], s[18:19], v[12:13], v[18:19]
	v_add_f64 v[34:35], v[32:33], -v[36:37]
	v_fma_f64 v[0:1], v[30:31], 2.0, -v[120:121]
	v_fma_f64 v[22:23], v[24:25], 2.0, -v[158:159]
	v_fmac_f64_e32 v[60:61], s[14:15], v[126:127]
	v_fma_f64 v[30:31], v[4:5], 2.0, -v[124:125]
	v_fma_f64 v[10:11], s[18:19], v[14:15], v[52:53]
	v_fmac_f64_e32 v[8:9], s[16:17], v[14:15]
	v_fma_f64 v[16:17], s[0:1], v[20:21], v[26:27]
	v_fma_f64 v[6:7], v[32:33], 2.0, -v[34:35]
	v_fma_f64 v[32:33], v[50:51], 2.0, -v[60:61]
	v_fmac_f64_e32 v[10:11], s[20:21], v[12:13]
	v_fma_f64 v[12:13], v[18:19], 2.0, -v[8:9]
	v_fma_f64 v[18:19], s[0:1], v[22:23], v[42:43]
	v_fmac_f64_e32 v[16:17], s[0:1], v[22:23]
	v_fma_f64 v[24:25], s[16:17], v[30:31], v[44:45]
	v_fmac_f64_e32 v[18:19], s[14:15], v[20:21]
	v_fma_f64 v[20:21], v[26:27], 2.0, -v[16:17]
	v_fma_f64 v[26:27], s[16:17], v[32:33], v[48:49]
	v_fmac_f64_e32 v[24:25], s[18:19], v[32:33]
	v_add_f64 v[38:39], v[132:133], -v[38:39]
	v_add_f64 v[40:41], v[134:135], -v[40:41]
	v_fma_f64 v[22:23], v[42:43], 2.0, -v[18:19]
	v_fmac_f64_e32 v[26:27], s[22:23], v[30:31]
	v_fma_f64 v[30:31], v[44:45], 2.0, -v[24:25]
	v_fma_f64 v[42:43], s[20:21], v[122:123], v[248:249]
	v_fma_f64 v[44:45], s[20:21], v[138:139], v[250:251]
	v_fma_f64 v[132:133], v[132:133], 2.0, -v[38:39]
	v_fma_f64 v[134:135], v[134:135], 2.0, -v[40:41]
	v_fmac_f64_e32 v[42:43], s[18:19], v[138:139]
	v_fmac_f64_e32 v[44:45], s[22:23], v[122:123]
	v_add_f64 v[0:1], v[132:133], -v[0:1]
	v_add_f64 v[2:3], v[134:135], -v[6:7]
	v_fma_f64 v[14:15], v[52:53], 2.0, -v[10:11]
	v_fma_f64 v[32:33], v[48:49], 2.0, -v[26:27]
	;; [unrolled: 1-line block ×4, first 2 shown]
	v_fma_f64 v[50:51], s[14:15], v[156:157], v[54:55]
	v_fma_f64 v[52:53], s[14:15], v[158:159], v[252:253]
	;; [unrolled: 1-line block ×4, first 2 shown]
	v_fma_f64 v[4:5], v[132:133], 2.0, -v[0:1]
	v_fma_f64 v[6:7], v[134:135], 2.0, -v[2:3]
	v_add_f64 v[34:35], v[38:39], -v[34:35]
	v_add_f64 v[36:37], v[40:41], v[120:121]
	v_fmac_f64_e32 v[50:51], s[0:1], v[158:159]
	v_fmac_f64_e32 v[52:53], s[14:15], v[156:157]
	;; [unrolled: 1-line block ×4, first 2 shown]
	v_mov_b32_e32 v124, v28
	v_lshlrev_b32_e32 v28, 4, v28
	v_fma_f64 v[38:39], v[38:39], 2.0, -v[34:35]
	v_fma_f64 v[40:41], v[40:41], 2.0, -v[36:37]
	;; [unrolled: 1-line block ×6, first 2 shown]
	ds_write_b128 v56, v[4:7]
	ds_write_b128 v56, v[12:15] offset:1728
	ds_write_b128 v56, v[20:23] offset:3456
	;; [unrolled: 1-line block ×15, first 2 shown]
	s_waitcnt lgkmcnt(0)
	s_barrier
	global_load_dwordx4 v[6:9], v28, s[6:7]
	ds_read_b128 v[0:3], v56
	v_lshl_add_u64 v[4:5], s[6:7], 0, v[28:29]
	s_movk_i32 s0, 0x2000
	v_add_co_u32_e32 v14, vcc, s0, v4
	s_movk_i32 s0, 0x4000
	s_nop 0
	v_addc_co_u32_e32 v15, vcc, 0, v5, vcc
	s_waitcnt vmcnt(0) lgkmcnt(0)
	v_mul_f64 v[10:11], v[2:3], v[8:9]
	v_mul_f64 v[12:13], v[0:1], v[8:9]
	v_fma_f64 v[10:11], v[0:1], v[6:7], -v[10:11]
	v_fmac_f64_e32 v[12:13], v[2:3], v[6:7]
	global_load_dwordx4 v[6:9], v[14:15], off offset:1024
	ds_read_b128 v[0:3], v56 offset:9216
	ds_write_b128 v56, v[10:13]
	s_waitcnt vmcnt(0) lgkmcnt(1)
	v_mul_f64 v[10:11], v[2:3], v[8:9]
	v_mul_f64 v[12:13], v[0:1], v[8:9]
	v_fma_f64 v[10:11], v[0:1], v[6:7], -v[10:11]
	v_fmac_f64_e32 v[12:13], v[2:3], v[6:7]
	v_accvgpr_read_b32 v6, a91
	global_load_dwordx4 v[6:9], v6, s[6:7]
	ds_read_b128 v[0:3], v56 offset:18432
	ds_write_b128 v56, v[10:13] offset:9216
	s_waitcnt vmcnt(0) lgkmcnt(1)
	v_mul_f64 v[10:11], v[2:3], v[8:9]
	v_mul_f64 v[12:13], v[0:1], v[8:9]
	v_fma_f64 v[10:11], v[0:1], v[6:7], -v[10:11]
	v_fmac_f64_e32 v[12:13], v[2:3], v[6:7]
	global_load_dwordx4 v[6:9], v28, s[6:7] offset:1728
	ds_read_b128 v[0:3], v56 offset:1728
	ds_write_b128 v56, v[10:13] offset:18432
	s_waitcnt vmcnt(0) lgkmcnt(1)
	v_mul_f64 v[10:11], v[2:3], v[8:9]
	v_mul_f64 v[12:13], v[0:1], v[8:9]
	v_fma_f64 v[10:11], v[0:1], v[6:7], -v[10:11]
	v_fmac_f64_e32 v[12:13], v[2:3], v[6:7]
	global_load_dwordx4 v[6:9], v[14:15], off offset:2752
	ds_read_b128 v[0:3], v56 offset:10944
	ds_write_b128 v56, v[10:13] offset:1728
	s_waitcnt vmcnt(0) lgkmcnt(1)
	v_mul_f64 v[10:11], v[2:3], v[8:9]
	v_mul_f64 v[12:13], v[0:1], v[8:9]
	v_fma_f64 v[10:11], v[0:1], v[6:7], -v[10:11]
	v_fmac_f64_e32 v[12:13], v[2:3], v[6:7]
	v_add_co_u32_e32 v6, vcc, s0, v4
	ds_write_b128 v56, v[10:13] offset:10944
	s_nop 0
	v_addc_co_u32_e32 v7, vcc, 0, v5, vcc
	global_load_dwordx4 v[8:11], v[6:7], off offset:3776
	ds_read_b128 v[0:3], v56 offset:20160
	s_movk_i32 s0, 0x3000
	s_waitcnt vmcnt(0) lgkmcnt(0)
	v_mul_f64 v[12:13], v[2:3], v[10:11]
	v_mul_f64 v[14:15], v[0:1], v[10:11]
	v_fma_f64 v[12:13], v[0:1], v[8:9], -v[12:13]
	v_fmac_f64_e32 v[14:15], v[2:3], v[8:9]
	global_load_dwordx4 v[8:11], v28, s[6:7] offset:3456
	ds_read_b128 v[0:3], v56 offset:3456
	ds_write_b128 v56, v[12:15] offset:20160
	s_waitcnt vmcnt(0) lgkmcnt(1)
	v_mul_f64 v[12:13], v[2:3], v[10:11]
	v_fma_f64 v[12:13], v[0:1], v[8:9], -v[12:13]
	v_mul_f64 v[14:15], v[0:1], v[10:11]
	v_add_co_u32_e32 v0, vcc, s0, v4
	v_fmac_f64_e32 v[14:15], v[2:3], v[8:9]
	s_nop 0
	v_addc_co_u32_e32 v1, vcc, 0, v5, vcc
	ds_write_b128 v56, v[12:15] offset:3456
	global_load_dwordx4 v[12:15], v[0:1], off offset:384
	ds_read_b128 v[8:11], v56 offset:12672
	s_movk_i32 s0, 0x5000
	s_waitcnt vmcnt(0) lgkmcnt(0)
	v_mul_f64 v[2:3], v[10:11], v[14:15]
	v_fma_f64 v[16:17], v[8:9], v[12:13], -v[2:3]
	v_add_co_u32_e32 v2, vcc, s0, v4
	v_mul_f64 v[18:19], v[8:9], v[14:15]
	s_nop 0
	v_addc_co_u32_e32 v3, vcc, 0, v5, vcc
	v_fmac_f64_e32 v[18:19], v[10:11], v[12:13]
	global_load_dwordx4 v[12:15], v[2:3], off offset:1408
	ds_read_b128 v[8:11], v56 offset:21888
	s_movk_i32 s0, 0x1000
	v_add_co_u32_e32 v20, vcc, s0, v4
	ds_write_b128 v56, v[16:19] offset:12672
	s_nop 0
	v_addc_co_u32_e32 v21, vcc, 0, v5, vcc
	s_movk_i32 s0, 0x6000
	s_waitcnt vmcnt(0) lgkmcnt(1)
	v_mul_f64 v[16:17], v[10:11], v[14:15]
	v_mul_f64 v[18:19], v[8:9], v[14:15]
	v_fma_f64 v[16:17], v[8:9], v[12:13], -v[16:17]
	v_fmac_f64_e32 v[18:19], v[10:11], v[12:13]
	global_load_dwordx4 v[12:15], v[20:21], off offset:1088
	ds_read_b128 v[8:11], v56 offset:5184
	ds_write_b128 v56, v[16:19] offset:21888
	s_waitcnt vmcnt(0) lgkmcnt(1)
	v_mul_f64 v[16:17], v[10:11], v[14:15]
	v_mul_f64 v[18:19], v[8:9], v[14:15]
	v_fma_f64 v[16:17], v[8:9], v[12:13], -v[16:17]
	v_fmac_f64_e32 v[18:19], v[10:11], v[12:13]
	global_load_dwordx4 v[12:15], v[0:1], off offset:2112
	ds_read_b128 v[8:11], v56 offset:14400
	ds_write_b128 v56, v[16:19] offset:5184
	;; [unrolled: 8-line block ×4, first 2 shown]
	s_waitcnt vmcnt(0) lgkmcnt(1)
	v_mul_f64 v[2:3], v[10:11], v[14:15]
	v_fma_f64 v[16:17], v[8:9], v[12:13], -v[2:3]
	global_load_dwordx4 v[0:3], v[0:1], off offset:3840
	v_mul_f64 v[18:19], v[8:9], v[14:15]
	v_fmac_f64_e32 v[18:19], v[10:11], v[12:13]
	ds_read_b128 v[8:11], v56 offset:16128
	ds_write_b128 v56, v[16:19] offset:6912
	s_waitcnt vmcnt(0) lgkmcnt(1)
	v_mul_f64 v[12:13], v[10:11], v[2:3]
	v_fma_f64 v[12:13], v[8:9], v[0:1], -v[12:13]
	v_mul_f64 v[14:15], v[8:9], v[2:3]
	v_add_co_u32_e32 v8, vcc, s0, v4
	v_fmac_f64_e32 v[14:15], v[10:11], v[0:1]
	s_nop 0
	v_addc_co_u32_e32 v9, vcc, 0, v5, vcc
	ds_write_b128 v56, v[12:15] offset:16128
	global_load_dwordx4 v[10:13], v[8:9], off offset:768
	ds_read_b128 v[0:3], v56 offset:25344
	s_waitcnt vmcnt(0) lgkmcnt(0)
	v_mul_f64 v[14:15], v[2:3], v[12:13]
	v_mul_f64 v[16:17], v[0:1], v[12:13]
	v_fma_f64 v[14:15], v[0:1], v[10:11], -v[14:15]
	v_fmac_f64_e32 v[16:17], v[2:3], v[10:11]
	ds_write_b128 v56, v[14:17] offset:25344
	s_and_saveexec_b64 s[0:1], s[4:5]
	s_cbranch_execz .LBB0_17
; %bb.16:
	v_add_co_u32_e32 v4, vcc, 0x2000, v4
	ds_read_b128 v[0:3], v56 offset:8640
	s_nop 0
	v_addc_co_u32_e32 v5, vcc, 0, v5, vcc
	global_load_dwordx4 v[10:13], v[4:5], off offset:448
	s_waitcnt vmcnt(0) lgkmcnt(0)
	v_mul_f64 v[4:5], v[2:3], v[12:13]
	v_fma_f64 v[14:15], v[0:1], v[10:11], -v[4:5]
	global_load_dwordx4 v[4:7], v[6:7], off offset:1472
	v_mul_f64 v[16:17], v[0:1], v[12:13]
	v_fmac_f64_e32 v[16:17], v[2:3], v[10:11]
	ds_read_b128 v[0:3], v56 offset:17856
	ds_write_b128 v56, v[14:17] offset:8640
	s_waitcnt vmcnt(0) lgkmcnt(1)
	v_mul_f64 v[10:11], v[2:3], v[6:7]
	v_mul_f64 v[12:13], v[0:1], v[6:7]
	v_fma_f64 v[10:11], v[0:1], v[4:5], -v[10:11]
	v_fmac_f64_e32 v[12:13], v[2:3], v[4:5]
	global_load_dwordx4 v[4:7], v[8:9], off offset:2496
	ds_read_b128 v[0:3], v56 offset:27072
	ds_write_b128 v56, v[10:13] offset:17856
	s_waitcnt vmcnt(0) lgkmcnt(1)
	v_mul_f64 v[8:9], v[2:3], v[6:7]
	v_mul_f64 v[10:11], v[0:1], v[6:7]
	v_fma_f64 v[8:9], v[0:1], v[4:5], -v[8:9]
	v_fmac_f64_e32 v[10:11], v[2:3], v[4:5]
	ds_write_b128 v56, v[8:11] offset:27072
.LBB0_17:
	s_or_b64 exec, exec, s[0:1]
	s_waitcnt lgkmcnt(0)
	s_barrier
	ds_read_b128 v[20:23], v56
	ds_read_b128 v[16:19], v56 offset:1728
	ds_read_b128 v[48:51], v56 offset:18432
	;; [unrolled: 1-line block ×14, first 2 shown]
	s_and_saveexec_b64 s[0:1], s[4:5]
	s_cbranch_execz .LBB0_19
; %bb.18:
	ds_read_b128 v[248:251], v56 offset:8640
	ds_read_b128 v[240:243], v56 offset:17856
	ds_read_b128 v[244:247], v56 offset:27072
.LBB0_19:
	s_or_b64 exec, exec, s[0:1]
	s_waitcnt lgkmcnt(4)
	v_add_f64 v[60:61], v[20:21], v[52:53]
	v_add_f64 v[120:121], v[60:61], v[48:49]
	;; [unrolled: 1-line block ×3, first 2 shown]
	s_mov_b32 s0, 0xe8584caa
	v_fmac_f64_e32 v[20:21], -0.5, v[60:61]
	v_add_f64 v[60:61], v[54:55], -v[50:51]
	s_mov_b32 s1, 0xbfebb67a
	s_mov_b32 s7, 0x3febb67a
	;; [unrolled: 1-line block ×3, first 2 shown]
	v_fma_f64 v[132:133], s[0:1], v[60:61], v[20:21]
	v_fmac_f64_e32 v[20:21], s[6:7], v[60:61]
	v_add_f64 v[60:61], v[22:23], v[54:55]
	v_add_f64 v[122:123], v[60:61], v[50:51]
	v_add_f64 v[50:51], v[54:55], v[50:51]
	v_fmac_f64_e32 v[22:23], -0.5, v[50:51]
	v_add_f64 v[48:49], v[52:53], -v[48:49]
	v_add_f64 v[50:51], v[44:45], v[40:41]
	v_fma_f64 v[134:135], s[6:7], v[48:49], v[22:23]
	v_fmac_f64_e32 v[22:23], s[0:1], v[48:49]
	v_add_f64 v[48:49], v[16:17], v[44:45]
	v_fmac_f64_e32 v[16:17], -0.5, v[50:51]
	v_add_f64 v[50:51], v[46:47], -v[42:43]
	v_fma_f64 v[52:53], s[0:1], v[50:51], v[16:17]
	v_fmac_f64_e32 v[16:17], s[6:7], v[50:51]
	v_add_f64 v[50:51], v[18:19], v[46:47]
	v_add_f64 v[50:51], v[50:51], v[42:43]
	;; [unrolled: 1-line block ×4, first 2 shown]
	v_fmac_f64_e32 v[18:19], -0.5, v[42:43]
	v_add_f64 v[40:41], v[44:45], -v[40:41]
	v_add_f64 v[42:43], v[32:33], v[36:37]
	v_fma_f64 v[54:55], s[6:7], v[40:41], v[18:19]
	v_fmac_f64_e32 v[18:19], s[0:1], v[40:41]
	v_add_f64 v[40:41], v[12:13], v[32:33]
	v_fmac_f64_e32 v[12:13], -0.5, v[42:43]
	v_add_f64 v[42:43], v[34:35], -v[38:39]
	v_fma_f64 v[44:45], s[0:1], v[42:43], v[12:13]
	v_fmac_f64_e32 v[12:13], s[6:7], v[42:43]
	v_add_f64 v[42:43], v[14:15], v[34:35]
	v_add_f64 v[34:35], v[34:35], v[38:39]
	v_fmac_f64_e32 v[14:15], -0.5, v[34:35]
	v_add_f64 v[32:33], v[32:33], -v[36:37]
	s_waitcnt lgkmcnt(2)
	v_add_f64 v[34:35], v[252:253], v[4:5]
	v_fma_f64 v[46:47], s[6:7], v[32:33], v[14:15]
	v_fmac_f64_e32 v[14:15], s[0:1], v[32:33]
	v_add_f64 v[32:33], v[8:9], v[252:253]
	v_fmac_f64_e32 v[8:9], -0.5, v[34:35]
	v_add_f64 v[34:35], v[254:255], -v[6:7]
	v_add_f64 v[40:41], v[40:41], v[36:37]
	v_fma_f64 v[36:37], s[0:1], v[34:35], v[8:9]
	v_fmac_f64_e32 v[8:9], s[6:7], v[34:35]
	v_add_f64 v[34:35], v[10:11], v[254:255]
	v_add_f64 v[34:35], v[34:35], v[6:7]
	;; [unrolled: 1-line block ×4, first 2 shown]
	v_fmac_f64_e32 v[10:11], -0.5, v[6:7]
	v_add_f64 v[4:5], v[252:253], -v[4:5]
	s_waitcnt lgkmcnt(0)
	v_add_f64 v[6:7], v[24:25], v[28:29]
	v_add_f64 v[42:43], v[42:43], v[38:39]
	v_fma_f64 v[38:39], s[6:7], v[4:5], v[10:11]
	v_fmac_f64_e32 v[10:11], s[0:1], v[4:5]
	v_add_f64 v[4:5], v[0:1], v[24:25]
	v_fmac_f64_e32 v[0:1], -0.5, v[6:7]
	v_add_f64 v[6:7], v[26:27], -v[30:31]
	v_fma_f64 v[252:253], s[0:1], v[6:7], v[0:1]
	v_fmac_f64_e32 v[0:1], s[6:7], v[6:7]
	v_add_f64 v[6:7], v[2:3], v[26:27]
	v_add_f64 v[26:27], v[26:27], v[30:31]
	v_fmac_f64_e32 v[2:3], -0.5, v[26:27]
	v_add_f64 v[24:25], v[24:25], -v[28:29]
	v_add_f64 v[26:27], v[240:241], v[244:245]
	v_add_f64 v[6:7], v[6:7], v[30:31]
	v_fma_f64 v[254:255], s[6:7], v[24:25], v[2:3]
	v_fmac_f64_e32 v[2:3], s[0:1], v[24:25]
	v_add_f64 v[24:25], v[248:249], v[240:241]
	v_fmac_f64_e32 v[248:249], -0.5, v[26:27]
	v_add_f64 v[26:27], v[242:243], -v[246:247]
	v_add_f64 v[30:31], v[242:243], v[246:247]
	v_add_f64 v[4:5], v[4:5], v[28:29]
	v_fma_f64 v[28:29], s[0:1], v[26:27], v[248:249]
	v_fmac_f64_e32 v[248:249], s[6:7], v[26:27]
	v_add_f64 v[26:27], v[250:251], v[242:243]
	v_fmac_f64_e32 v[250:251], -0.5, v[30:31]
	v_add_f64 v[60:61], v[240:241], -v[244:245]
	v_fma_f64 v[30:31], s[6:7], v[60:61], v[250:251]
	v_fmac_f64_e32 v[250:251], s[0:1], v[60:61]
	v_accvgpr_read_b32 v60, a1
	s_barrier
	ds_write_b128 v60, v[120:123]
	ds_write_b128 v60, v[132:135] offset:16
	ds_write_b128 v60, v[20:23] offset:32
	ds_write_b128 v62, v[48:51]
	ds_write_b128 v62, v[52:55] offset:16
	ds_write_b128 v62, v[16:19] offset:32
	;; [unrolled: 3-line block ×3, first 2 shown]
	v_accvgpr_read_b32 v12, a55
	v_add_f64 v[24:25], v[24:25], v[244:245]
	v_add_f64 v[26:27], v[26:27], v[246:247]
	ds_write_b128 v12, v[32:35]
	ds_write_b128 v12, v[36:39] offset:16
	ds_write_b128 v12, v[8:11] offset:32
	v_accvgpr_read_b32 v8, a64
	ds_write_b128 v8, v[4:7]
	ds_write_b128 v8, v[252:255] offset:16
	ds_write_b128 v8, v[0:3] offset:32
	s_and_saveexec_b64 s[0:1], s[4:5]
	s_cbranch_execz .LBB0_21
; %bb.20:
	v_accvgpr_read_b32 v8, a65
	v_lshlrev_b32_e32 v8, 4, v8
	ds_write_b128 v8, v[24:27]
	ds_write_b128 v8, v[28:31] offset:16
	ds_write_b128 v8, v[248:251] offset:32
.LBB0_21:
	s_or_b64 exec, exec, s[0:1]
	s_waitcnt lgkmcnt(0)
	s_barrier
	ds_read_b128 v[8:11], v56
	ds_read_b128 v[240:243], v56 offset:1728
	ds_read_b128 v[52:55], v56 offset:4608
	;; [unrolled: 1-line block ×11, first 2 shown]
	s_and_saveexec_b64 s[0:1], s[2:3]
	s_cbranch_execz .LBB0_23
; %bb.22:
	ds_read_b128 v[4:7], v56 offset:3456
	ds_read_b128 v[252:255], v56 offset:8064
	;; [unrolled: 1-line block ×6, first 2 shown]
.LBB0_23:
	s_or_b64 exec, exec, s[0:1]
	s_waitcnt lgkmcnt(9)
	v_mul_f64 v[60:61], v[74:75], v[54:55]
	v_fmac_f64_e32 v[60:61], v[72:73], v[52:53]
	v_mul_f64 v[52:53], v[74:75], v[52:53]
	v_fma_f64 v[52:53], v[72:73], v[54:55], -v[52:53]
	s_waitcnt lgkmcnt(7)
	v_mul_f64 v[54:55], v[70:71], v[246:247]
	v_mul_f64 v[62:63], v[70:71], v[244:245]
	v_fmac_f64_e32 v[54:55], v[68:69], v[244:245]
	v_fma_f64 v[62:63], v[68:69], v[246:247], -v[62:63]
	s_waitcnt lgkmcnt(5)
	v_mul_f64 v[68:69], v[66:67], v[50:51]
	v_fmac_f64_e32 v[68:69], v[64:65], v[48:49]
	v_mul_f64 v[48:49], v[66:67], v[48:49]
	v_fma_f64 v[48:49], v[64:65], v[50:51], -v[48:49]
	v_accvgpr_read_b32 v64, a66
	v_accvgpr_read_b32 v66, a68
	;; [unrolled: 1-line block ×4, first 2 shown]
	s_waitcnt lgkmcnt(3)
	v_mul_f64 v[50:51], v[66:67], v[46:47]
	v_fmac_f64_e32 v[50:51], v[64:65], v[44:45]
	v_mul_f64 v[44:45], v[66:67], v[44:45]
	v_fma_f64 v[44:45], v[64:65], v[46:47], -v[44:45]
	s_waitcnt lgkmcnt(1)
	v_mul_f64 v[46:47], v[78:79], v[42:43]
	v_fmac_f64_e32 v[46:47], v[76:77], v[40:41]
	v_mul_f64 v[40:41], v[78:79], v[40:41]
	v_fma_f64 v[40:41], v[76:77], v[42:43], -v[40:41]
	v_mul_f64 v[42:43], v[90:91], v[38:39]
	v_fmac_f64_e32 v[42:43], v[88:89], v[36:37]
	v_mul_f64 v[36:37], v[90:91], v[36:37]
	v_fma_f64 v[64:65], v[88:89], v[38:39], -v[36:37]
	v_mul_f64 v[36:37], v[86:87], v[34:35]
	s_waitcnt lgkmcnt(0)
	v_mul_f64 v[72:73], v[98:99], v[14:15]
	v_fmac_f64_e32 v[36:37], v[84:85], v[32:33]
	v_mul_f64 v[32:33], v[86:87], v[32:33]
	v_fmac_f64_e32 v[72:73], v[96:97], v[12:13]
	v_mul_f64 v[12:13], v[98:99], v[12:13]
	v_fma_f64 v[32:33], v[84:85], v[34:35], -v[32:33]
	v_mul_f64 v[34:35], v[82:83], v[22:23]
	v_fma_f64 v[74:75], v[96:97], v[14:15], -v[12:13]
	v_mul_f64 v[12:13], v[114:115], v[252:253]
	v_fmac_f64_e32 v[34:35], v[80:81], v[20:21]
	v_mul_f64 v[20:21], v[82:83], v[20:21]
	v_fma_f64 v[78:79], v[112:113], v[254:255], -v[12:13]
	v_mul_f64 v[12:13], v[106:107], v[24:25]
	v_fma_f64 v[38:39], v[80:81], v[22:23], -v[20:21]
	;; [unrolled: 2-line block ×3, first 2 shown]
	v_mul_f64 v[12:13], v[102:103], v[28:29]
	v_fmac_f64_e32 v[80:81], v[108:109], v[0:1]
	v_mul_f64 v[0:1], v[110:111], v[0:1]
	v_fma_f64 v[86:87], v[100:101], v[30:31], -v[12:13]
	v_mul_f64 v[12:13], v[118:119], v[248:249]
	v_fma_f64 v[0:1], v[108:109], v[2:3], -v[0:1]
	;; [unrolled: 2-line block ×3, first 2 shown]
	v_add_f64 v[12:13], v[8:9], v[54:55]
	v_fmac_f64_e32 v[2:3], v[104:105], v[24:25]
	v_add_f64 v[24:25], v[12:13], v[50:51]
	v_add_f64 v[12:13], v[54:55], v[50:51]
	s_mov_b32 s6, 0xe8584caa
	v_fmac_f64_e32 v[8:9], -0.5, v[12:13]
	v_add_f64 v[12:13], v[62:63], -v[44:45]
	s_mov_b32 s7, 0xbfebb67a
	s_mov_b32 s1, 0x3febb67a
	s_mov_b32 s0, s6
	v_fma_f64 v[26:27], s[6:7], v[12:13], v[8:9]
	v_fmac_f64_e32 v[8:9], s[0:1], v[12:13]
	v_add_f64 v[12:13], v[10:11], v[62:63]
	v_mul_f64 v[84:85], v[102:103], v[30:31]
	v_add_f64 v[30:31], v[12:13], v[44:45]
	v_add_f64 v[12:13], v[62:63], v[44:45]
	v_fmac_f64_e32 v[10:11], -0.5, v[12:13]
	v_add_f64 v[12:13], v[54:55], -v[50:51]
	v_fma_f64 v[44:45], s[0:1], v[12:13], v[10:11]
	v_fmac_f64_e32 v[10:11], s[6:7], v[12:13]
	v_add_f64 v[12:13], v[60:61], v[68:69]
	v_mul_f64 v[66:67], v[94:95], v[18:19]
	v_fmac_f64_e32 v[84:85], v[100:101], v[28:29]
	v_add_f64 v[28:29], v[12:13], v[46:47]
	v_add_f64 v[12:13], v[68:69], v[46:47]
	v_fmac_f64_e32 v[66:67], v[92:93], v[16:17]
	v_mul_f64 v[16:17], v[94:95], v[16:17]
	v_fmac_f64_e32 v[60:61], -0.5, v[12:13]
	v_add_f64 v[12:13], v[48:49], -v[40:41]
	v_fma_f64 v[70:71], v[92:93], v[18:19], -v[16:17]
	v_fma_f64 v[18:19], s[6:7], v[12:13], v[60:61]
	v_fmac_f64_e32 v[60:61], s[0:1], v[12:13]
	v_add_f64 v[12:13], v[52:53], v[48:49]
	v_add_f64 v[50:51], v[12:13], v[40:41]
	;; [unrolled: 1-line block ×3, first 2 shown]
	v_fmac_f64_e32 v[52:53], -0.5, v[12:13]
	v_add_f64 v[12:13], v[68:69], -v[46:47]
	v_fma_f64 v[22:23], s[0:1], v[12:13], v[52:53]
	v_mul_f64 v[40:41], v[22:23], s[6:7]
	v_fmac_f64_e32 v[40:41], 0.5, v[18:19]
	v_mul_f64 v[48:49], v[22:23], 0.5
	v_fmac_f64_e32 v[52:53], s[6:7], v[12:13]
	v_add_f64 v[12:13], v[24:25], v[28:29]
	v_add_f64 v[16:17], v[26:27], v[40:41]
	v_fmac_f64_e32 v[48:49], s[0:1], v[18:19]
	v_add_f64 v[24:25], v[24:25], -v[28:29]
	v_add_f64 v[28:29], v[26:27], -v[40:41]
	v_add_f64 v[40:41], v[240:241], v[36:37]
	v_mul_f64 v[46:47], v[52:53], s[6:7]
	v_add_f64 v[14:15], v[30:31], v[50:51]
	v_add_f64 v[18:19], v[44:45], v[48:49]
	v_add_f64 v[26:27], v[30:31], -v[50:51]
	v_add_f64 v[30:31], v[44:45], -v[48:49]
	v_add_f64 v[44:45], v[40:41], v[66:67]
	v_add_f64 v[40:41], v[36:37], v[66:67]
	v_fmac_f64_e32 v[46:47], -0.5, v[60:61]
	v_fmac_f64_e32 v[240:241], -0.5, v[40:41]
	v_add_f64 v[40:41], v[32:33], -v[70:71]
	v_add_f64 v[20:21], v[8:9], v[46:47]
	v_add_f64 v[8:9], v[8:9], -v[46:47]
	v_fma_f64 v[46:47], s[6:7], v[40:41], v[240:241]
	v_fmac_f64_e32 v[240:241], s[0:1], v[40:41]
	v_add_f64 v[40:41], v[242:243], v[32:33]
	v_add_f64 v[32:33], v[32:33], v[70:71]
	v_fmac_f64_e32 v[242:243], -0.5, v[32:33]
	v_add_f64 v[32:33], v[36:37], -v[66:67]
	v_fma_f64 v[54:55], s[0:1], v[32:33], v[242:243]
	v_fmac_f64_e32 v[242:243], s[6:7], v[32:33]
	v_add_f64 v[32:33], v[42:43], v[34:35]
	v_mul_f64 v[52:53], v[52:53], -0.5
	v_add_f64 v[48:49], v[32:33], v[72:73]
	v_add_f64 v[32:33], v[34:35], v[72:73]
	v_fmac_f64_e32 v[52:53], s[0:1], v[60:61]
	v_fmac_f64_e32 v[42:43], -0.5, v[32:33]
	v_add_f64 v[32:33], v[38:39], -v[74:75]
	v_add_f64 v[22:23], v[10:11], v[52:53]
	v_add_f64 v[10:11], v[10:11], -v[52:53]
	v_fma_f64 v[52:53], s[6:7], v[32:33], v[42:43]
	v_fmac_f64_e32 v[42:43], s[0:1], v[32:33]
	v_add_f64 v[32:33], v[64:65], v[38:39]
	v_add_f64 v[60:61], v[32:33], v[74:75]
	;; [unrolled: 1-line block ×3, first 2 shown]
	v_fmac_f64_e32 v[64:65], -0.5, v[32:33]
	v_add_f64 v[32:33], v[34:35], -v[72:73]
	v_fma_f64 v[38:39], s[0:1], v[32:33], v[64:65]
	v_mul_f64 v[62:63], v[38:39], s[6:7]
	v_add_f64 v[50:51], v[40:41], v[70:71]
	v_fmac_f64_e32 v[62:63], 0.5, v[52:53]
	v_mul_f64 v[68:69], v[38:39], 0.5
	v_fmac_f64_e32 v[64:65], s[6:7], v[32:33]
	v_add_f64 v[32:33], v[44:45], v[48:49]
	v_add_f64 v[36:37], v[46:47], v[62:63]
	;; [unrolled: 1-line block ×3, first 2 shown]
	v_fmac_f64_e32 v[68:69], s[0:1], v[52:53]
	v_add_f64 v[44:45], v[44:45], -v[48:49]
	v_add_f64 v[48:49], v[46:47], -v[62:63]
	;; [unrolled: 1-line block ×3, first 2 shown]
	v_add_f64 v[60:61], v[80:81], v[4:5]
	v_add_f64 v[38:39], v[54:55], v[68:69]
	v_add_f64 v[50:51], v[54:55], -v[68:69]
	v_add_f64 v[68:69], v[84:85], v[60:61]
	v_add_f64 v[60:61], v[84:85], v[80:81]
	v_fmac_f64_e32 v[4:5], -0.5, v[60:61]
	v_add_f64 v[60:61], v[0:1], -v[86:87]
	v_mul_f64 v[76:77], v[114:115], v[254:255]
	v_fma_f64 v[70:71], s[6:7], v[60:61], v[4:5]
	v_fmac_f64_e32 v[4:5], s[0:1], v[60:61]
	v_add_f64 v[60:61], v[0:1], v[6:7]
	v_add_f64 v[0:1], v[86:87], v[0:1]
	v_fmac_f64_e32 v[76:77], v[112:113], v[252:253]
	v_mul_f64 v[88:89], v[118:119], v[250:251]
	v_fmac_f64_e32 v[6:7], -0.5, v[0:1]
	v_add_f64 v[0:1], v[80:81], -v[84:85]
	v_fmac_f64_e32 v[88:89], v[116:117], v[248:249]
	v_fma_f64 v[80:81], s[0:1], v[0:1], v[6:7]
	v_fmac_f64_e32 v[6:7], s[6:7], v[0:1]
	v_add_f64 v[0:1], v[2:3], v[76:77]
	v_add_f64 v[72:73], v[88:89], v[0:1]
	;; [unrolled: 1-line block ×3, first 2 shown]
	v_fmac_f64_e32 v[76:77], -0.5, v[0:1]
	v_add_f64 v[0:1], v[82:83], -v[90:91]
	v_fma_f64 v[62:63], s[6:7], v[0:1], v[76:77]
	v_fmac_f64_e32 v[76:77], s[0:1], v[0:1]
	v_add_f64 v[0:1], v[82:83], v[78:79]
	v_mul_f64 v[66:67], v[64:65], s[6:7]
	v_add_f64 v[84:85], v[90:91], v[0:1]
	v_add_f64 v[0:1], v[82:83], v[90:91]
	v_fmac_f64_e32 v[66:67], -0.5, v[42:43]
	v_fmac_f64_e32 v[78:79], -0.5, v[0:1]
	v_add_f64 v[0:1], v[2:3], -v[88:89]
	v_add_f64 v[40:41], v[240:241], v[66:67]
	v_add_f64 v[52:53], v[240:241], -v[66:67]
	v_fma_f64 v[66:67], s[0:1], v[0:1], v[78:79]
	v_fmac_f64_e32 v[78:79], s[6:7], v[0:1]
	v_mul_f64 v[64:65], v[64:65], -0.5
	v_add_f64 v[74:75], v[86:87], v[60:61]
	v_mul_f64 v[82:83], v[66:67], s[6:7]
	v_mul_f64 v[86:87], v[78:79], s[6:7]
	v_mul_f64 v[88:89], v[66:67], 0.5
	v_mul_f64 v[78:79], v[78:79], -0.5
	v_fmac_f64_e32 v[64:65], s[0:1], v[42:43]
	v_fmac_f64_e32 v[82:83], 0.5, v[62:63]
	v_fmac_f64_e32 v[86:87], -0.5, v[76:77]
	v_fmac_f64_e32 v[88:89], s[0:1], v[62:63]
	v_fmac_f64_e32 v[78:79], s[0:1], v[76:77]
	v_accvgpr_read_b32 v76, a72
	v_add_f64 v[42:43], v[242:243], v[64:65]
	v_add_f64 v[54:55], v[242:243], -v[64:65]
	v_add_f64 v[0:1], v[68:69], v[72:73]
	v_add_f64 v[60:61], v[70:71], v[82:83]
	;; [unrolled: 1-line block ×6, first 2 shown]
	v_add_f64 v[68:69], v[68:69], -v[72:73]
	v_add_f64 v[72:73], v[70:71], -v[82:83]
	;; [unrolled: 1-line block ×6, first 2 shown]
	s_barrier
	ds_write_b128 v76, v[12:15]
	ds_write_b128 v76, v[16:19] offset:48
	ds_write_b128 v76, v[20:23] offset:96
	;; [unrolled: 1-line block ×5, first 2 shown]
	v_accvgpr_read_b32 v8, a73
	ds_write_b128 v8, v[32:35]
	ds_write_b128 v8, v[36:39] offset:48
	ds_write_b128 v8, v[40:43] offset:96
	;; [unrolled: 1-line block ×5, first 2 shown]
	s_and_saveexec_b64 s[0:1], s[2:3]
	s_cbranch_execz .LBB0_25
; %bb.24:
	v_accvgpr_read_b32 v8, a90
	v_lshlrev_b32_e32 v8, 4, v8
	ds_write_b128 v8, v[0:3]
	ds_write_b128 v8, v[60:63] offset:48
	ds_write_b128 v8, v[64:67] offset:96
	;; [unrolled: 1-line block ×5, first 2 shown]
.LBB0_25:
	s_or_b64 exec, exec, s[0:1]
	s_waitcnt lgkmcnt(0)
	s_barrier
	ds_read_b128 v[12:15], v56
	ds_read_b128 v[8:11], v56 offset:1728
	ds_read_b128 v[52:55], v56 offset:4608
	;; [unrolled: 1-line block ×11, first 2 shown]
	s_and_saveexec_b64 s[0:1], s[2:3]
	s_cbranch_execz .LBB0_27
; %bb.26:
	ds_read_b128 v[0:3], v56 offset:3456
	ds_read_b128 v[60:63], v56 offset:8064
	;; [unrolled: 1-line block ×6, first 2 shown]
.LBB0_27:
	s_or_b64 exec, exec, s[0:1]
	s_waitcnt lgkmcnt(9)
	v_mul_f64 v[76:77], v[154:155], v[54:55]
	v_fmac_f64_e32 v[76:77], v[152:153], v[52:53]
	v_mul_f64 v[52:53], v[154:155], v[52:53]
	v_fma_f64 v[52:53], v[152:153], v[54:55], -v[52:53]
	s_waitcnt lgkmcnt(7)
	v_mul_f64 v[54:55], v[146:147], v[50:51]
	v_fmac_f64_e32 v[54:55], v[144:145], v[48:49]
	v_mul_f64 v[48:49], v[146:147], v[48:49]
	v_fma_f64 v[48:49], v[144:145], v[50:51], -v[48:49]
	s_waitcnt lgkmcnt(5)
	v_mul_f64 v[50:51], v[142:143], v[46:47]
	v_fmac_f64_e32 v[50:51], v[140:141], v[44:45]
	v_mul_f64 v[44:45], v[142:143], v[44:45]
	v_fma_f64 v[44:45], v[140:141], v[46:47], -v[44:45]
	s_waitcnt lgkmcnt(3)
	v_mul_f64 v[46:47], v[130:131], v[42:43]
	v_fmac_f64_e32 v[46:47], v[128:129], v[40:41]
	v_mul_f64 v[40:41], v[130:131], v[40:41]
	v_fma_f64 v[40:41], v[128:129], v[42:43], -v[40:41]
	s_waitcnt lgkmcnt(1)
	v_mul_f64 v[42:43], v[150:151], v[38:39]
	v_fmac_f64_e32 v[42:43], v[148:149], v[36:37]
	v_mul_f64 v[36:37], v[150:151], v[36:37]
	s_waitcnt lgkmcnt(0)
	v_mul_f64 v[92:93], v[178:179], v[18:19]
	v_fma_f64 v[36:37], v[148:149], v[38:39], -v[36:37]
	v_mul_f64 v[38:39], v[170:171], v[30:31]
	v_fmac_f64_e32 v[92:93], v[176:177], v[16:17]
	v_mul_f64 v[16:17], v[178:179], v[16:17]
	v_fmac_f64_e32 v[38:39], v[168:169], v[28:29]
	v_mul_f64 v[28:29], v[170:171], v[28:29]
	v_fma_f64 v[94:95], v[176:177], v[18:19], -v[16:17]
	v_add_f64 v[16:17], v[12:13], v[54:55]
	v_fma_f64 v[82:83], v[168:169], v[30:31], -v[28:29]
	v_add_f64 v[28:29], v[16:17], v[46:47]
	v_add_f64 v[16:17], v[54:55], v[46:47]
	s_mov_b32 s0, 0xe8584caa
	v_mul_f64 v[78:79], v[174:175], v[34:35]
	v_fmac_f64_e32 v[12:13], -0.5, v[16:17]
	v_add_f64 v[16:17], v[48:49], -v[40:41]
	s_mov_b32 s1, 0xbfebb67a
	s_mov_b32 s7, 0x3febb67a
	;; [unrolled: 1-line block ×3, first 2 shown]
	v_fmac_f64_e32 v[78:79], v[172:173], v[32:33]
	v_mul_f64 v[32:33], v[174:175], v[32:33]
	v_fma_f64 v[30:31], s[0:1], v[16:17], v[12:13]
	v_fmac_f64_e32 v[12:13], s[6:7], v[16:17]
	v_add_f64 v[16:17], v[14:15], v[48:49]
	v_fma_f64 v[80:81], v[172:173], v[34:35], -v[32:33]
	v_add_f64 v[34:35], v[16:17], v[40:41]
	v_add_f64 v[16:17], v[48:49], v[40:41]
	v_fmac_f64_e32 v[14:15], -0.5, v[16:17]
	v_add_f64 v[16:17], v[54:55], -v[46:47]
	v_fma_f64 v[40:41], s[6:7], v[16:17], v[14:15]
	v_fmac_f64_e32 v[14:15], s[0:1], v[16:17]
	v_add_f64 v[16:17], v[76:77], v[50:51]
	v_mul_f64 v[88:89], v[162:163], v[22:23]
	v_add_f64 v[32:33], v[16:17], v[42:43]
	v_add_f64 v[16:17], v[50:51], v[42:43]
	v_fmac_f64_e32 v[88:89], v[160:161], v[20:21]
	v_mul_f64 v[20:21], v[162:163], v[20:21]
	v_fmac_f64_e32 v[76:77], -0.5, v[16:17]
	v_add_f64 v[16:17], v[44:45], -v[36:37]
	v_fma_f64 v[90:91], v[160:161], v[22:23], -v[20:21]
	v_fma_f64 v[22:23], s[0:1], v[16:17], v[76:77]
	v_fmac_f64_e32 v[76:77], s[6:7], v[16:17]
	v_add_f64 v[16:17], v[52:53], v[44:45]
	v_mul_f64 v[84:85], v[166:167], v[26:27]
	v_add_f64 v[46:47], v[16:17], v[36:37]
	v_add_f64 v[16:17], v[44:45], v[36:37]
	v_fmac_f64_e32 v[84:85], v[164:165], v[24:25]
	v_mul_f64 v[24:25], v[166:167], v[24:25]
	v_fmac_f64_e32 v[52:53], -0.5, v[16:17]
	v_add_f64 v[16:17], v[50:51], -v[42:43]
	v_fma_f64 v[86:87], v[164:165], v[26:27], -v[24:25]
	v_fma_f64 v[26:27], s[6:7], v[16:17], v[52:53]
	v_fmac_f64_e32 v[52:53], s[0:1], v[16:17]
	v_mul_f64 v[36:37], v[26:27], s[0:1]
	v_fmac_f64_e32 v[36:37], 0.5, v[22:23]
	v_mul_f64 v[48:49], v[52:53], -0.5
	v_add_f64 v[16:17], v[28:29], v[32:33]
	v_add_f64 v[20:21], v[30:31], v[36:37]
	v_fmac_f64_e32 v[48:49], s[6:7], v[76:77]
	v_add_f64 v[28:29], v[28:29], -v[32:33]
	v_add_f64 v[32:33], v[30:31], -v[36:37]
	v_add_f64 v[36:37], v[8:9], v[38:39]
	v_mul_f64 v[44:45], v[26:27], 0.5
	v_add_f64 v[26:27], v[14:15], v[48:49]
	v_add_f64 v[14:15], v[14:15], -v[48:49]
	v_add_f64 v[48:49], v[36:37], v[88:89]
	v_add_f64 v[36:37], v[38:39], v[88:89]
	v_fmac_f64_e32 v[8:9], -0.5, v[36:37]
	v_add_f64 v[36:37], v[82:83], -v[90:91]
	v_fma_f64 v[50:51], s[0:1], v[36:37], v[8:9]
	v_fmac_f64_e32 v[8:9], s[6:7], v[36:37]
	v_add_f64 v[36:37], v[10:11], v[82:83]
	v_add_f64 v[54:55], v[36:37], v[90:91]
	;; [unrolled: 1-line block ×3, first 2 shown]
	v_mul_f64 v[42:43], v[52:53], s[0:1]
	v_fmac_f64_e32 v[10:11], -0.5, v[36:37]
	v_add_f64 v[36:37], v[38:39], -v[88:89]
	v_fmac_f64_e32 v[42:43], -0.5, v[76:77]
	v_fma_f64 v[76:77], s[6:7], v[36:37], v[10:11]
	v_fmac_f64_e32 v[10:11], s[0:1], v[36:37]
	v_add_f64 v[36:37], v[78:79], v[84:85]
	v_add_f64 v[52:53], v[36:37], v[92:93]
	v_add_f64 v[36:37], v[84:85], v[92:93]
	v_fmac_f64_e32 v[78:79], -0.5, v[36:37]
	v_add_f64 v[36:37], v[86:87], -v[94:95]
	v_add_f64 v[24:25], v[12:13], v[42:43]
	v_add_f64 v[12:13], v[12:13], -v[42:43]
	v_fma_f64 v[42:43], s[0:1], v[36:37], v[78:79]
	v_fmac_f64_e32 v[78:79], s[6:7], v[36:37]
	v_add_f64 v[36:37], v[80:81], v[86:87]
	v_add_f64 v[82:83], v[36:37], v[94:95]
	;; [unrolled: 1-line block ×3, first 2 shown]
	v_fmac_f64_e32 v[80:81], -0.5, v[36:37]
	v_add_f64 v[36:37], v[84:85], -v[92:93]
	v_add_f64 v[18:19], v[34:35], v[46:47]
	v_add_f64 v[30:31], v[34:35], -v[46:47]
	v_fma_f64 v[46:47], s[6:7], v[36:37], v[80:81]
	v_fmac_f64_e32 v[80:81], s[0:1], v[36:37]
	v_mul_f64 v[84:85], v[46:47], s[0:1]
	v_mul_f64 v[88:89], v[46:47], 0.5
	v_fmac_f64_e32 v[44:45], s[6:7], v[22:23]
	v_fmac_f64_e32 v[84:85], 0.5, v[42:43]
	v_mul_f64 v[86:87], v[80:81], s[0:1]
	v_fmac_f64_e32 v[88:89], s[6:7], v[42:43]
	v_mul_f64 v[80:81], v[80:81], -0.5
	v_add_f64 v[22:23], v[40:41], v[44:45]
	v_add_f64 v[34:35], v[40:41], -v[44:45]
	v_add_f64 v[36:37], v[48:49], v[52:53]
	v_add_f64 v[40:41], v[50:51], v[84:85]
	v_fmac_f64_e32 v[86:87], -0.5, v[78:79]
	v_add_f64 v[38:39], v[54:55], v[82:83]
	v_add_f64 v[42:43], v[76:77], v[88:89]
	v_fmac_f64_e32 v[80:81], s[6:7], v[78:79]
	v_add_f64 v[48:49], v[48:49], -v[52:53]
	v_add_f64 v[52:53], v[50:51], -v[84:85]
	;; [unrolled: 1-line block ×4, first 2 shown]
	v_accvgpr_read_b32 v76, a96
	v_add_f64 v[44:45], v[8:9], v[86:87]
	v_add_f64 v[46:47], v[10:11], v[80:81]
	v_add_f64 v[8:9], v[8:9], -v[86:87]
	v_add_f64 v[10:11], v[10:11], -v[80:81]
	s_barrier
	ds_write_b128 v76, v[16:19]
	ds_write_b128 v76, v[20:23] offset:288
	ds_write_b128 v76, v[24:27] offset:576
	ds_write_b128 v76, v[28:31] offset:864
	ds_write_b128 v76, v[32:35] offset:1152
	ds_write_b128 v76, v[12:15] offset:1440
	ds_write_b128 v57, v[36:39]
	ds_write_b128 v57, v[40:43] offset:288
	ds_write_b128 v57, v[44:47] offset:576
	;; [unrolled: 1-line block ×5, first 2 shown]
	s_and_saveexec_b64 s[14:15], s[2:3]
	s_cbranch_execz .LBB0_29
; %bb.28:
	v_accvgpr_read_b32 v26, a86
	v_accvgpr_read_b32 v28, a88
	v_accvgpr_read_b32 v29, a89
	v_accvgpr_read_b32 v32, a74
	v_accvgpr_read_b32 v40, a92
	v_accvgpr_read_b32 v27, a87
	v_mul_f64 v[8:9], v[28:29], v[64:65]
	v_accvgpr_read_b32 v22, a78
	v_mul_f64 v[16:17], v[28:29], v[66:67]
	v_accvgpr_read_b32 v36, a82
	v_accvgpr_read_b32 v34, a76
	;; [unrolled: 1-line block ×5, first 2 shown]
	v_fma_f64 v[10:11], v[26:27], v[66:67], -v[8:9]
	v_accvgpr_read_b32 v24, a80
	v_accvgpr_read_b32 v25, a81
	v_fmac_f64_e32 v[16:17], v[26:27], v[64:65]
	v_accvgpr_read_b32 v38, a84
	v_accvgpr_read_b32 v39, a85
	;; [unrolled: 1-line block ×3, first 2 shown]
	v_mul_f64 v[26:27], v[34:35], v[70:71]
	v_accvgpr_read_b32 v41, a93
	v_mul_f64 v[28:29], v[42:43], v[6:7]
	v_mul_f64 v[8:9], v[24:25], v[72:73]
	;; [unrolled: 1-line block ×3, first 2 shown]
	v_accvgpr_read_b32 v37, a83
	v_mul_f64 v[24:25], v[38:39], v[62:63]
	v_fmac_f64_e32 v[26:27], v[32:33], v[68:69]
	v_fmac_f64_e32 v[28:29], v[40:41], v[4:5]
	;; [unrolled: 1-line block ×3, first 2 shown]
	v_add_f64 v[12:13], v[26:27], v[28:29]
	v_accvgpr_read_b32 v23, a79
	v_fma_f64 v[30:31], -0.5, v[12:13], v[24:25]
	v_mul_f64 v[12:13], v[34:35], v[68:69]
	v_mul_f64 v[4:5], v[42:43], v[4:5]
	v_fma_f64 v[14:15], v[22:23], v[74:75], -v[8:9]
	v_fma_f64 v[12:13], v[32:33], v[70:71], -v[12:13]
	;; [unrolled: 1-line block ×3, first 2 shown]
	v_mul_f64 v[4:5], v[38:39], v[60:61]
	v_add_f64 v[8:9], v[14:15], v[10:11]
	v_fma_f64 v[36:37], v[36:37], v[62:63], -v[4:5]
	v_add_f64 v[4:5], v[12:13], v[6:7]
	v_fma_f64 v[18:19], -0.5, v[8:9], v[2:3]
	v_fma_f64 v[38:39], -0.5, v[4:5], v[36:37]
	v_add_f64 v[40:41], v[26:27], -v[28:29]
	v_add_f64 v[2:3], v[10:11], v[2:3]
	v_fmac_f64_e32 v[20:21], v[22:23], v[72:73]
	v_fma_f64 v[42:43], s[0:1], v[40:41], v[38:39]
	v_fmac_f64_e32 v[38:39], s[6:7], v[40:41]
	v_add_f64 v[40:41], v[14:15], v[2:3]
	v_add_f64 v[2:3], v[12:13], v[36:37]
	v_add_f64 v[32:33], v[12:13], -v[6:7]
	v_add_f64 v[36:37], v[6:7], v[2:3]
	v_add_f64 v[2:3], v[20:21], v[16:17]
	v_add_f64 v[8:9], v[16:17], -v[20:21]
	v_fma_f64 v[34:35], s[6:7], v[32:33], v[30:31]
	v_mul_f64 v[44:45], v[42:43], -0.5
	v_fma_f64 v[46:47], -0.5, v[2:3], v[0:1]
	v_add_f64 v[6:7], v[10:11], -v[14:15]
	v_add_f64 v[0:1], v[16:17], v[0:1]
	v_add_f64 v[10:11], v[26:27], v[24:25]
	v_fma_f64 v[22:23], s[0:1], v[8:9], v[18:19]
	v_fmac_f64_e32 v[44:45], s[6:7], v[34:35]
	v_mul_f64 v[42:43], v[42:43], s[0:1]
	v_add_f64 v[0:1], v[20:21], v[0:1]
	v_add_f64 v[26:27], v[28:29], v[10:11]
	v_add_f64 v[4:5], v[22:23], -v[44:45]
	v_fmac_f64_e32 v[30:31], s[0:1], v[32:33]
	v_fma_f64 v[14:15], s[6:7], v[6:7], v[46:47]
	v_fmac_f64_e32 v[42:43], -0.5, v[34:35]
	v_fmac_f64_e32 v[46:47], s[0:1], v[6:7]
	v_mul_f64 v[34:35], v[38:39], s[0:1]
	v_add_f64 v[10:11], v[0:1], -v[26:27]
	v_add_f64 v[16:17], v[22:23], v[44:45]
	v_add_f64 v[22:23], v[0:1], v[26:27]
	s_movk_i32 s0, 0x6c
	v_accvgpr_read_b32 v0, a70
	v_accvgpr_read_b32 v1, a71
	v_mul_f64 v[32:33], v[38:39], 0.5
	v_mad_legacy_u16 v0, v0, s0, v1
	v_fmac_f64_e32 v[18:19], s[6:7], v[8:9]
	v_fmac_f64_e32 v[32:33], s[6:7], v[30:31]
	v_fmac_f64_e32 v[34:35], 0.5, v[30:31]
	v_add_f64 v[24:25], v[40:41], v[36:37]
	v_lshlrev_b32_e32 v0, 4, v0
	v_add_f64 v[8:9], v[18:19], -v[32:33]
	v_add_f64 v[12:13], v[40:41], -v[36:37]
	;; [unrolled: 1-line block ×4, first 2 shown]
	v_add_f64 v[20:21], v[18:19], v[32:33]
	v_add_f64 v[14:15], v[14:15], v[42:43]
	v_add_f64 v[18:19], v[46:47], v[34:35]
	ds_write_b128 v0, v[22:25]
	ds_write_b128 v0, v[18:21] offset:288
	ds_write_b128 v0, v[14:17] offset:576
	;; [unrolled: 1-line block ×5, first 2 shown]
.LBB0_29:
	s_or_b64 exec, exec, s[14:15]
	s_waitcnt lgkmcnt(0)
	s_barrier
	ds_read_b128 v[6:9], v56
	ds_read_b128 v[10:13], v56 offset:1728
	ds_read_b128 v[14:17], v56 offset:3456
	ds_read_b128 v[18:21], v56 offset:5184
	ds_read_b128 v[22:25], v56 offset:6912
	ds_read_b128 v[26:29], v56 offset:8640
	ds_read_b128 v[30:33], v56 offset:10368
	ds_read_b128 v[34:37], v56 offset:12096
	ds_read_b128 v[38:41], v56 offset:13824
	ds_read_b128 v[42:45], v56 offset:15552
	ds_read_b128 v[46:49], v56 offset:17280
	ds_read_b128 v[50:53], v56 offset:19008
	ds_read_b128 v[60:63], v56 offset:20736
	ds_read_b128 v[64:67], v56 offset:22464
	ds_read_b128 v[68:71], v56 offset:24192
	ds_read_b128 v[72:75], v56 offset:25920
	s_waitcnt lgkmcnt(14)
	v_mul_f64 v[54:55], v[206:207], v[12:13]
	v_fmac_f64_e32 v[54:55], v[204:205], v[10:11]
	v_mul_f64 v[10:11], v[206:207], v[10:11]
	v_fma_f64 v[10:11], v[204:205], v[12:13], -v[10:11]
	s_waitcnt lgkmcnt(13)
	v_mul_f64 v[12:13], v[190:191], v[16:17]
	v_fmac_f64_e32 v[12:13], v[188:189], v[14:15]
	v_mul_f64 v[14:15], v[190:191], v[14:15]
	v_fma_f64 v[14:15], v[188:189], v[16:17], -v[14:15]
	s_waitcnt lgkmcnt(12)
	v_mul_f64 v[16:17], v[186:187], v[20:21]
	v_fmac_f64_e32 v[16:17], v[184:185], v[18:19]
	v_mul_f64 v[18:19], v[186:187], v[18:19]
	v_fma_f64 v[18:19], v[184:185], v[20:21], -v[18:19]
	s_waitcnt lgkmcnt(11)
	v_mul_f64 v[20:21], v[182:183], v[24:25]
	v_fmac_f64_e32 v[20:21], v[180:181], v[22:23]
	v_mul_f64 v[22:23], v[182:183], v[22:23]
	v_fma_f64 v[22:23], v[180:181], v[24:25], -v[22:23]
	s_waitcnt lgkmcnt(10)
	v_mul_f64 v[24:25], v[222:223], v[28:29]
	v_fmac_f64_e32 v[24:25], v[220:221], v[26:27]
	v_mul_f64 v[26:27], v[222:223], v[26:27]
	v_fma_f64 v[26:27], v[220:221], v[28:29], -v[26:27]
	s_waitcnt lgkmcnt(9)
	v_mul_f64 v[28:29], v[202:203], v[32:33]
	v_fmac_f64_e32 v[28:29], v[200:201], v[30:31]
	v_mul_f64 v[30:31], v[202:203], v[30:31]
	v_fma_f64 v[30:31], v[200:201], v[32:33], -v[30:31]
	s_waitcnt lgkmcnt(8)
	v_mul_f64 v[32:33], v[198:199], v[36:37]
	v_fmac_f64_e32 v[32:33], v[196:197], v[34:35]
	v_mul_f64 v[34:35], v[198:199], v[34:35]
	v_fma_f64 v[34:35], v[196:197], v[36:37], -v[34:35]
	s_waitcnt lgkmcnt(7)
	v_mul_f64 v[36:37], v[194:195], v[40:41]
	v_fmac_f64_e32 v[36:37], v[192:193], v[38:39]
	v_mul_f64 v[38:39], v[194:195], v[38:39]
	v_fma_f64 v[38:39], v[192:193], v[40:41], -v[38:39]
	s_waitcnt lgkmcnt(6)
	v_mul_f64 v[40:41], v[234:235], v[44:45]
	v_fmac_f64_e32 v[40:41], v[232:233], v[42:43]
	v_mul_f64 v[42:43], v[234:235], v[42:43]
	v_fma_f64 v[42:43], v[232:233], v[44:45], -v[42:43]
	s_waitcnt lgkmcnt(5)
	v_mul_f64 v[44:45], v[218:219], v[48:49]
	v_fmac_f64_e32 v[44:45], v[216:217], v[46:47]
	v_mul_f64 v[46:47], v[218:219], v[46:47]
	v_fma_f64 v[46:47], v[216:217], v[48:49], -v[46:47]
	s_waitcnt lgkmcnt(4)
	v_mul_f64 v[48:49], v[214:215], v[52:53]
	v_fmac_f64_e32 v[48:49], v[212:213], v[50:51]
	v_mul_f64 v[50:51], v[214:215], v[50:51]
	v_fma_f64 v[50:51], v[212:213], v[52:53], -v[50:51]
	s_waitcnt lgkmcnt(3)
	v_mul_f64 v[52:53], v[210:211], v[62:63]
	v_fmac_f64_e32 v[52:53], v[208:209], v[60:61]
	v_mul_f64 v[60:61], v[210:211], v[60:61]
	v_fma_f64 v[60:61], v[208:209], v[62:63], -v[60:61]
	s_waitcnt lgkmcnt(2)
	v_mul_f64 v[62:63], v[238:239], v[66:67]
	v_fmac_f64_e32 v[62:63], v[236:237], v[64:65]
	v_mul_f64 v[64:65], v[238:239], v[64:65]
	v_fma_f64 v[64:65], v[236:237], v[66:67], -v[64:65]
	s_waitcnt lgkmcnt(1)
	v_mul_f64 v[66:67], v[230:231], v[70:71]
	v_fmac_f64_e32 v[66:67], v[228:229], v[68:69]
	v_mul_f64 v[68:69], v[230:231], v[68:69]
	v_accvgpr_read_b32 v96, a54
	v_fma_f64 v[68:69], v[228:229], v[70:71], -v[68:69]
	s_waitcnt lgkmcnt(0)
	v_mul_f64 v[70:71], v[226:227], v[74:75]
	v_mad_u64_u32 v[2:3], s[0:1], s10, v96, 0
	v_fmac_f64_e32 v[70:71], v[224:225], v[72:73]
	v_mul_f64 v[72:73], v[226:227], v[72:73]
	v_fma_f64 v[72:73], v[224:225], v[74:75], -v[72:73]
	v_add_f64 v[36:37], v[6:7], -v[36:37]
	v_add_f64 v[38:39], v[8:9], -v[38:39]
	;; [unrolled: 1-line block ×12, first 2 shown]
	s_mov_b32 s0, 0x667f3bcd
	v_fma_f64 v[6:7], v[6:7], 2.0, -v[36:37]
	v_fma_f64 v[20:21], v[20:21], 2.0, -v[52:53]
	v_fma_f64 v[22:23], v[22:23], 2.0, -v[60:61]
	v_fma_f64 v[12:13], v[12:13], 2.0, -v[44:45]
	v_fma_f64 v[28:29], v[28:29], 2.0, -v[66:67]
	v_fma_f64 v[30:31], v[30:31], 2.0, -v[68:69]
	v_add_f64 v[42:43], v[10:11], -v[42:43]
	v_fma_f64 v[54:55], v[54:55], 2.0, -v[40:41]
	v_add_f64 v[64:65], v[26:27], -v[64:65]
	v_fma_f64 v[24:25], v[24:25], 2.0, -v[62:63]
	;; [unrolled: 2-line block ×4, first 2 shown]
	v_add_f64 v[60:61], v[36:37], v[60:61]
	v_add_f64 v[52:53], v[38:39], -v[52:53]
	v_add_f64 v[68:69], v[44:45], v[68:69]
	v_add_f64 v[66:67], v[46:47], -v[66:67]
	s_mov_b32 s1, 0xbfe6a09e
	s_mov_b32 s3, 0x3fe6a09e
	;; [unrolled: 1-line block ×3, first 2 shown]
	v_fma_f64 v[8:9], v[8:9], 2.0, -v[38:39]
	v_fma_f64 v[14:15], v[14:15], 2.0, -v[46:47]
	;; [unrolled: 1-line block ×6, first 2 shown]
	v_add_f64 v[20:21], v[6:7], -v[20:21]
	v_fma_f64 v[36:37], v[36:37], 2.0, -v[60:61]
	v_add_f64 v[28:29], v[12:13], -v[28:29]
	v_fma_f64 v[44:45], v[44:45], 2.0, -v[68:69]
	v_add_f64 v[24:25], v[54:55], -v[24:25]
	v_add_f64 v[32:33], v[16:17], -v[32:33]
	v_fma_f64 v[88:89], s[2:3], v[66:67], v[52:53]
	v_add_f64 v[22:23], v[8:9], -v[22:23]
	v_fma_f64 v[6:7], v[6:7], 2.0, -v[20:21]
	v_fma_f64 v[38:39], v[38:39], 2.0, -v[52:53]
	v_add_f64 v[30:31], v[14:15], -v[30:31]
	v_fma_f64 v[12:13], v[12:13], 2.0, -v[28:29]
	v_fma_f64 v[46:47], v[46:47], 2.0, -v[66:67]
	v_add_f64 v[26:27], v[10:11], -v[26:27]
	v_fma_f64 v[54:55], v[54:55], 2.0, -v[24:25]
	v_add_f64 v[64:65], v[40:41], v[64:65]
	v_add_f64 v[62:63], v[42:43], -v[62:63]
	v_add_f64 v[34:35], v[18:19], -v[34:35]
	v_fma_f64 v[16:17], v[16:17], 2.0, -v[32:33]
	v_add_f64 v[72:73], v[48:49], v[72:73]
	v_add_f64 v[70:71], v[50:51], -v[70:71]
	v_fma_f64 v[78:79], s[0:1], v[44:45], v[36:37]
	v_fma_f64 v[86:87], s[2:3], v[68:69], v[60:61]
	v_fmac_f64_e32 v[88:89], s[0:1], v[68:69]
	v_fma_f64 v[8:9], v[8:9], 2.0, -v[22:23]
	v_fma_f64 v[14:15], v[14:15], 2.0, -v[30:31]
	;; [unrolled: 1-line block ×8, first 2 shown]
	v_add_f64 v[74:75], v[6:7], -v[12:13]
	v_fma_f64 v[80:81], s[0:1], v[46:47], v[38:39]
	v_fmac_f64_e32 v[78:79], s[2:3], v[46:47]
	v_fmac_f64_e32 v[86:87], s[2:3], v[66:67]
	v_fma_f64 v[46:47], v[52:53], 2.0, -v[88:89]
	v_add_f64 v[52:53], v[54:55], -v[16:17]
	v_add_f64 v[76:77], v[8:9], -v[14:15]
	v_fma_f64 v[12:13], v[6:7], 2.0, -v[74:75]
	v_fmac_f64_e32 v[80:81], s[0:1], v[44:45]
	v_add_f64 v[84:85], v[22:23], -v[28:29]
	v_fma_f64 v[44:45], v[60:61], 2.0, -v[86:87]
	v_add_f64 v[60:61], v[10:11], -v[18:19]
	v_fma_f64 v[6:7], v[54:55], 2.0, -v[52:53]
	v_fma_f64 v[54:55], s[0:1], v[48:49], v[40:41]
	v_fma_f64 v[66:67], s[0:1], v[50:51], v[42:43]
	v_add_f64 v[90:91], v[26:27], -v[32:33]
	v_fma_f64 v[94:95], s[2:3], v[70:71], v[62:63]
	v_mov_b32_e32 v0, s12
	v_mov_b32_e32 v1, s13
	v_fma_f64 v[14:15], v[8:9], 2.0, -v[76:77]
	v_add_f64 v[82:83], v[20:21], v[30:31]
	v_fma_f64 v[30:31], v[22:23], 2.0, -v[84:85]
	v_fma_f64 v[8:9], v[10:11], 2.0, -v[60:61]
	v_fmac_f64_e32 v[54:55], s[2:3], v[50:51]
	v_fmac_f64_e32 v[66:67], s[0:1], v[48:49]
	v_add_f64 v[68:69], v[24:25], v[34:35]
	v_fma_f64 v[26:27], v[26:27], 2.0, -v[90:91]
	v_fma_f64 v[92:93], s[2:3], v[72:73], v[64:65]
	v_fmac_f64_e32 v[94:95], s[0:1], v[72:73]
	s_mov_b32 s12, 0xcf328d46
	s_mov_b32 s6, 0xa6aea964
	v_fma_f64 v[36:37], v[36:37], 2.0, -v[78:79]
	v_fma_f64 v[38:39], v[38:39], 2.0, -v[80:81]
	;; [unrolled: 1-line block ×6, first 2 shown]
	v_fmac_f64_e32 v[92:93], s[2:3], v[70:71]
	v_fma_f64 v[40:41], v[62:63], 2.0, -v[94:95]
	v_add_f64 v[6:7], v[12:13], -v[6:7]
	v_add_f64 v[8:9], v[14:15], -v[8:9]
	s_mov_b32 s13, 0xbfed906b
	s_mov_b32 s7, 0x3fd87de2
	;; [unrolled: 1-line block ×4, first 2 shown]
	v_fma_f64 v[24:25], s[0:1], v[26:27], v[30:31]
	v_fma_f64 v[34:35], v[64:65], 2.0, -v[92:93]
	v_fma_f64 v[10:11], v[12:13], 2.0, -v[6:7]
	;; [unrolled: 1-line block ×3, first 2 shown]
	v_fma_f64 v[14:15], s[12:13], v[18:19], v[36:37]
	v_fma_f64 v[16:17], s[12:13], v[20:21], v[38:39]
	;; [unrolled: 1-line block ×3, first 2 shown]
	v_fmac_f64_e32 v[24:25], s[0:1], v[32:33]
	v_fma_f64 v[32:33], s[14:15], v[40:41], v[46:47]
	v_fmac_f64_e32 v[14:15], s[6:7], v[20:21]
	v_fmac_f64_e32 v[16:17], s[14:15], v[18:19]
	;; [unrolled: 1-line block ×3, first 2 shown]
	s_mov_b32 s17, 0x3fed906b
	s_mov_b32 s16, s12
	v_fmac_f64_e32 v[32:33], s[12:13], v[34:35]
	v_fma_f64 v[62:63], s[2:3], v[90:91], v[84:85]
	v_fma_f64 v[18:19], v[36:37], 2.0, -v[14:15]
	v_fma_f64 v[20:21], v[38:39], 2.0, -v[16:17]
	;; [unrolled: 1-line block ×4, first 2 shown]
	v_fma_f64 v[30:31], s[14:15], v[34:35], v[44:45]
	v_fma_f64 v[36:37], v[46:47], 2.0, -v[32:33]
	v_add_f64 v[38:39], v[74:75], v[60:61]
	v_fma_f64 v[46:47], s[6:7], v[54:55], v[78:79]
	v_fma_f64 v[48:49], s[6:7], v[66:67], v[80:81]
	;; [unrolled: 1-line block ×3, first 2 shown]
	v_fmac_f64_e32 v[62:63], s[0:1], v[68:69]
	v_fma_f64 v[68:69], s[16:17], v[92:93], v[86:87]
	v_fma_f64 v[70:71], s[16:17], v[94:95], v[88:89]
	v_fmac_f64_e32 v[30:31], s[16:17], v[40:41]
	v_add_f64 v[40:41], v[76:77], -v[52:53]
	v_fmac_f64_e32 v[46:47], s[16:17], v[66:67]
	v_fmac_f64_e32 v[48:49], s[12:13], v[54:55]
	;; [unrolled: 1-line block ×5, first 2 shown]
	v_fma_f64 v[34:35], v[44:45], 2.0, -v[30:31]
	v_fma_f64 v[42:43], v[74:75], 2.0, -v[38:39]
	;; [unrolled: 1-line block ×9, first 2 shown]
	ds_write_b128 v56, v[10:13]
	ds_write_b128 v56, v[18:21] offset:1728
	ds_write_b128 v56, v[26:29] offset:3456
	;; [unrolled: 1-line block ×15, first 2 shown]
	s_waitcnt lgkmcnt(0)
	s_barrier
	ds_read_b128 v[6:9], v56
	ds_read_b128 v[10:13], v56 offset:1728
	v_mov_b32_e32 v4, v3
	v_accvgpr_read_b32 v14, a60
	v_mad_u64_u32 v[4:5], s[0:1], s11, v96, v[4:5]
	v_accvgpr_read_b32 v16, a62
	v_accvgpr_read_b32 v17, a63
	v_mov_b32_e32 v3, v4
	v_accvgpr_read_b32 v15, a61
	s_waitcnt lgkmcnt(1)
	v_mul_f64 v[4:5], v[16:17], v[8:9]
	v_fmac_f64_e32 v[4:5], v[14:15], v[6:7]
	v_mul_f64 v[6:7], v[16:17], v[6:7]
	v_fma_f64 v[6:7], v[14:15], v[8:9], -v[6:7]
	v_mad_u64_u32 v[8:9], s[2:3], s8, v124, 0
	v_mov_b32_e32 v14, v9
	v_mad_u64_u32 v[14:15], s[2:3], s9, v124, v[14:15]
	v_mov_b32_e32 v9, v14
	ds_read_b128 v[14:17], v56 offset:9216
	s_mov_b32 s0, 0xbda12f68
	s_mov_b32 s1, 0x3f42f684
	v_lshl_add_u64 v[22:23], v[2:3], 4, v[0:1]
	ds_read_b128 v[0:3], v56 offset:6912
	v_accvgpr_read_b32 v18, a18
	v_mul_f64 v[4:5], v[4:5], s[0:1]
	v_mul_f64 v[6:7], v[6:7], s[0:1]
	v_lshl_add_u64 v[8:9], v[8:9], 4, v[22:23]
	v_accvgpr_read_b32 v20, a20
	v_accvgpr_read_b32 v21, a21
	global_store_dwordx4 v[8:9], v[4:7], off
	v_accvgpr_read_b32 v19, a19
	s_mul_i32 s2, s9, 0x240
	s_waitcnt lgkmcnt(1)
	v_mul_f64 v[4:5], v[20:21], v[16:17]
	v_mul_f64 v[6:7], v[20:21], v[14:15]
	v_fmac_f64_e32 v[4:5], v[18:19], v[14:15]
	v_fma_f64 v[6:7], v[18:19], v[16:17], -v[6:7]
	ds_read_b128 v[14:17], v56 offset:18432
	s_mul_hi_u32 s3, s8, 0x240
	s_add_i32 s3, s3, s2
	s_mul_i32 s2, s8, 0x240
	s_lshl_b64 s[2:3], s[2:3], 4
	v_accvgpr_read_b32 v29, a5
	v_mul_f64 v[4:5], v[4:5], s[0:1]
	v_mul_f64 v[6:7], v[6:7], s[0:1]
	v_lshl_add_u64 v[24:25], v[8:9], 0, s[2:3]
	v_accvgpr_read_b32 v28, a4
	global_store_dwordx4 v[24:25], v[4:7], off
	ds_read_b128 v[4:7], v56 offset:20160
	v_accvgpr_read_b32 v27, a3
	v_accvgpr_read_b32 v26, a2
	s_waitcnt lgkmcnt(1)
	v_mul_f64 v[8:9], v[28:29], v[16:17]
	v_fmac_f64_e32 v[8:9], v[26:27], v[14:15]
	v_mul_f64 v[18:19], v[8:9], s[0:1]
	v_mul_f64 v[8:9], v[28:29], v[14:15]
	v_fma_f64 v[8:9], v[26:27], v[16:17], -v[8:9]
	v_accvgpr_read_b32 v15, a0
	v_mul_f64 v[20:21], v[8:9], s[0:1]
	v_mad_u64_u32 v[8:9], s[6:7], s8, v15, 0
	v_mov_b32_e32 v14, v9
	v_mad_u64_u32 v[14:15], s[6:7], s9, v15, v[14:15]
	v_mov_b32_e32 v9, v14
	v_accvgpr_read_b32 v17, a9
	v_lshl_add_u64 v[8:9], v[8:9], 4, v[22:23]
	v_accvgpr_read_b32 v16, a8
	global_store_dwordx4 v[8:9], v[18:21], off
	v_accvgpr_read_b32 v15, a7
	v_accvgpr_read_b32 v14, a6
	v_mul_f64 v[8:9], v[16:17], v[12:13]
	v_fmac_f64_e32 v[8:9], v[14:15], v[10:11]
	v_mul_f64 v[10:11], v[16:17], v[10:11]
	v_fma_f64 v[10:11], v[14:15], v[12:13], -v[10:11]
	v_mov_b32_e32 v12, 0xffffe2c0
	v_mad_u64_u32 v[20:21], s[6:7], s8, v12, v[24:25]
	ds_read_b128 v[12:15], v56 offset:10944
	s_mul_i32 s6, s9, 0xffffe2c0
	s_sub_i32 s6, s6, s8
	v_accvgpr_read_b32 v25, a13
	v_mul_f64 v[8:9], v[8:9], s[0:1]
	v_mul_f64 v[10:11], v[10:11], s[0:1]
	v_add_u32_e32 v21, s6, v21
	v_accvgpr_read_b32 v24, a12
	global_store_dwordx4 v[20:21], v[8:11], off
	ds_read_b128 v[8:11], v56 offset:12672
	v_accvgpr_read_b32 v23, a11
	v_accvgpr_read_b32 v22, a10
	s_waitcnt lgkmcnt(1)
	v_mul_f64 v[16:17], v[24:25], v[14:15]
	v_fmac_f64_e32 v[16:17], v[22:23], v[12:13]
	v_mul_f64 v[12:13], v[24:25], v[12:13]
	v_fma_f64 v[12:13], v[22:23], v[14:15], -v[12:13]
	v_mul_f64 v[16:17], v[16:17], s[0:1]
	v_mul_f64 v[18:19], v[12:13], s[0:1]
	v_lshl_add_u64 v[20:21], v[20:21], 0, s[2:3]
	global_store_dwordx4 v[20:21], v[16:19], off
	v_accvgpr_read_b32 v14, a14
	v_accvgpr_read_b32 v15, a15
	;; [unrolled: 1-line block ×4, first 2 shown]
	v_mul_f64 v[12:13], v[16:17], v[6:7]
	v_fmac_f64_e32 v[12:13], v[14:15], v[4:5]
	v_mul_f64 v[4:5], v[16:17], v[4:5]
	v_fma_f64 v[14:15], v[14:15], v[6:7], -v[4:5]
	ds_read_b128 v[4:7], v56 offset:3456
	v_accvgpr_read_b32 v22, a22
	v_mul_f64 v[12:13], v[12:13], s[0:1]
	v_mul_f64 v[14:15], v[14:15], s[0:1]
	v_lshl_add_u64 v[20:21], v[20:21], 0, s[2:3]
	v_accvgpr_read_b32 v24, a24
	v_accvgpr_read_b32 v25, a25
	s_mul_hi_u32 s7, s8, 0xfffffbec
	global_store_dwordx4 v[20:21], v[12:15], off
	ds_read_b128 v[12:15], v56 offset:5184
	v_accvgpr_read_b32 v23, a23
	s_waitcnt lgkmcnt(1)
	v_mul_f64 v[16:17], v[24:25], v[6:7]
	s_mul_i32 s6, s9, 0xfffffbec
	s_sub_i32 s7, s7, s8
	v_fmac_f64_e32 v[16:17], v[22:23], v[4:5]
	v_mul_f64 v[4:5], v[24:25], v[4:5]
	s_add_i32 s7, s7, s6
	s_mul_i32 s6, s8, 0xfffffbec
	v_fma_f64 v[4:5], v[22:23], v[6:7], -v[4:5]
	s_lshl_b64 s[8:9], s[6:7], 4
	v_mul_f64 v[16:17], v[16:17], s[0:1]
	v_mul_f64 v[18:19], v[4:5], s[0:1]
	v_lshl_add_u64 v[20:21], v[20:21], 0, s[8:9]
	global_store_dwordx4 v[20:21], v[16:19], off
	v_accvgpr_read_b32 v22, a30
	v_lshl_add_u64 v[20:21], v[20:21], 0, s[2:3]
	v_accvgpr_read_b32 v16, a26
	v_accvgpr_read_b32 v18, a28
	;; [unrolled: 1-line block ×4, first 2 shown]
	v_mul_f64 v[4:5], v[18:19], v[10:11]
	v_mul_f64 v[6:7], v[18:19], v[8:9]
	v_fmac_f64_e32 v[4:5], v[16:17], v[8:9]
	v_fma_f64 v[6:7], v[16:17], v[10:11], -v[6:7]
	ds_read_b128 v[8:11], v56 offset:21888
	v_mul_f64 v[4:5], v[4:5], s[0:1]
	v_mul_f64 v[6:7], v[6:7], s[0:1]
	v_accvgpr_read_b32 v24, a32
	v_accvgpr_read_b32 v25, a33
	global_store_dwordx4 v[20:21], v[4:7], off
	ds_read_b128 v[4:7], v56 offset:23616
	v_accvgpr_read_b32 v23, a31
	s_waitcnt lgkmcnt(1)
	v_mul_f64 v[16:17], v[24:25], v[10:11]
	v_fmac_f64_e32 v[16:17], v[22:23], v[8:9]
	v_mul_f64 v[8:9], v[24:25], v[8:9]
	v_fma_f64 v[8:9], v[22:23], v[10:11], -v[8:9]
	v_mul_f64 v[16:17], v[16:17], s[0:1]
	v_mul_f64 v[18:19], v[8:9], s[0:1]
	v_lshl_add_u64 v[20:21], v[20:21], 0, s[2:3]
	global_store_dwordx4 v[20:21], v[16:19], off
	v_accvgpr_read_b32 v22, a34
	v_lshl_add_u64 v[20:21], v[20:21], 0, s[8:9]
	v_accvgpr_read_b32 v16, a38
	v_accvgpr_read_b32 v18, a40
	;; [unrolled: 1-line block ×4, first 2 shown]
	v_mul_f64 v[8:9], v[18:19], v[14:15]
	v_mul_f64 v[10:11], v[18:19], v[12:13]
	v_fmac_f64_e32 v[8:9], v[16:17], v[12:13]
	v_fma_f64 v[10:11], v[16:17], v[14:15], -v[10:11]
	ds_read_b128 v[12:15], v56 offset:14400
	v_mul_f64 v[8:9], v[8:9], s[0:1]
	v_mul_f64 v[10:11], v[10:11], s[0:1]
	v_accvgpr_read_b32 v24, a36
	v_accvgpr_read_b32 v25, a37
	global_store_dwordx4 v[20:21], v[8:11], off
	ds_read_b128 v[8:11], v56 offset:16128
	v_accvgpr_read_b32 v23, a35
	s_waitcnt lgkmcnt(1)
	v_mul_f64 v[16:17], v[24:25], v[14:15]
	v_fmac_f64_e32 v[16:17], v[22:23], v[12:13]
	v_mul_f64 v[12:13], v[24:25], v[12:13]
	v_fma_f64 v[12:13], v[22:23], v[14:15], -v[12:13]
	v_mul_f64 v[16:17], v[16:17], s[0:1]
	v_mul_f64 v[18:19], v[12:13], s[0:1]
	v_lshl_add_u64 v[20:21], v[20:21], 0, s[2:3]
	global_store_dwordx4 v[20:21], v[16:19], off
	v_accvgpr_read_b32 v14, a42
	v_accvgpr_read_b32 v15, a43
	;; [unrolled: 1-line block ×4, first 2 shown]
	v_mul_f64 v[12:13], v[16:17], v[6:7]
	v_fmac_f64_e32 v[12:13], v[14:15], v[4:5]
	v_mul_f64 v[4:5], v[16:17], v[4:5]
	v_fma_f64 v[4:5], v[14:15], v[6:7], -v[4:5]
	v_mul_f64 v[12:13], v[12:13], s[0:1]
	v_mul_f64 v[14:15], v[4:5], s[0:1]
	v_lshl_add_u64 v[16:17], v[20:21], 0, s[2:3]
	global_store_dwordx4 v[16:17], v[12:15], off
	s_nop 1
	v_accvgpr_read_b32 v12, a46
	v_accvgpr_read_b32 v14, a48
	v_accvgpr_read_b32 v15, a49
	v_accvgpr_read_b32 v13, a47
	v_mul_f64 v[4:5], v[14:15], v[2:3]
	v_fmac_f64_e32 v[4:5], v[12:13], v[0:1]
	v_mul_f64 v[0:1], v[14:15], v[0:1]
	v_fma_f64 v[0:1], v[12:13], v[2:3], -v[0:1]
	v_mul_f64 v[4:5], v[4:5], s[0:1]
	v_mul_f64 v[6:7], v[0:1], s[0:1]
	v_lshl_add_u64 v[12:13], v[16:17], 0, s[8:9]
	global_store_dwordx4 v[12:13], v[4:7], off
	v_accvgpr_read_b32 v14, a50
	ds_read_b128 v[4:7], v56 offset:25344
	v_accvgpr_read_b32 v16, a52
	v_accvgpr_read_b32 v17, a53
	;; [unrolled: 1-line block ×3, first 2 shown]
	s_waitcnt lgkmcnt(1)
	v_mul_f64 v[0:1], v[16:17], v[10:11]
	v_mul_f64 v[2:3], v[16:17], v[8:9]
	v_fmac_f64_e32 v[0:1], v[14:15], v[8:9]
	v_fma_f64 v[2:3], v[14:15], v[10:11], -v[2:3]
	v_lshl_add_u64 v[8:9], v[12:13], 0, s[2:3]
	v_accvgpr_read_b32 v10, a56
	v_mul_f64 v[0:1], v[0:1], s[0:1]
	v_mul_f64 v[2:3], v[2:3], s[0:1]
	v_accvgpr_read_b32 v12, a58
	v_accvgpr_read_b32 v13, a59
	global_store_dwordx4 v[8:9], v[0:3], off
	v_accvgpr_read_b32 v11, a57
	s_waitcnt lgkmcnt(0)
	v_mul_f64 v[0:1], v[12:13], v[6:7]
	v_fmac_f64_e32 v[0:1], v[10:11], v[4:5]
	v_mul_f64 v[2:3], v[0:1], s[0:1]
	v_mul_f64 v[0:1], v[12:13], v[4:5]
	v_fma_f64 v[0:1], v[10:11], v[6:7], -v[0:1]
	v_mul_f64 v[4:5], v[0:1], s[0:1]
	v_lshl_add_u64 v[0:1], v[8:9], 0, s[2:3]
	global_store_dwordx4 v[0:1], v[2:5], off
	s_and_b64 exec, exec, s[4:5]
	s_cbranch_execz .LBB0_31
; %bb.30:
	v_add_co_u32_e32 v2, vcc, 0x2000, v58
	v_lshl_add_u64 v[14:15], s[6:7], 4, v[0:1]
	s_nop 0
	v_addc_co_u32_e32 v3, vcc, 0, v59, vcc
	global_load_dwordx4 v[2:5], v[2:3], off offset:448
	ds_read_b128 v[6:9], v56 offset:8640
	ds_read_b128 v[10:13], v56 offset:17856
	s_movk_i32 s4, 0x4000
	v_add_co_u32_e32 v16, vcc, s4, v58
	s_movk_i32 s4, 0x6000
	s_nop 0
	v_addc_co_u32_e32 v17, vcc, 0, v59, vcc
	s_waitcnt vmcnt(0) lgkmcnt(1)
	v_mul_f64 v[0:1], v[8:9], v[4:5]
	v_mul_f64 v[4:5], v[6:7], v[4:5]
	v_fmac_f64_e32 v[0:1], v[6:7], v[2:3]
	v_fma_f64 v[2:3], v[2:3], v[8:9], -v[4:5]
	v_mul_f64 v[0:1], v[0:1], s[0:1]
	v_mul_f64 v[2:3], v[2:3], s[0:1]
	global_store_dwordx4 v[14:15], v[0:3], off
	global_load_dwordx4 v[0:3], v[16:17], off offset:1472
	v_lshl_add_u64 v[8:9], v[14:15], 0, s[2:3]
	v_add_co_u32_e32 v4, vcc, s4, v58
	s_waitcnt vmcnt(0) lgkmcnt(0)
	v_mul_f64 v[6:7], v[12:13], v[2:3]
	v_mul_f64 v[2:3], v[10:11], v[2:3]
	v_fmac_f64_e32 v[6:7], v[10:11], v[0:1]
	v_fma_f64 v[2:3], v[0:1], v[12:13], -v[2:3]
	v_mul_f64 v[0:1], v[6:7], s[0:1]
	v_mul_f64 v[2:3], v[2:3], s[0:1]
	v_addc_co_u32_e32 v5, vcc, 0, v59, vcc
	global_store_dwordx4 v[8:9], v[0:3], off
	global_load_dwordx4 v[0:3], v[4:5], off offset:2496
	ds_read_b128 v[4:7], v56 offset:27072
	s_waitcnt vmcnt(0) lgkmcnt(0)
	v_mul_f64 v[10:11], v[6:7], v[2:3]
	v_mul_f64 v[2:3], v[4:5], v[2:3]
	v_fmac_f64_e32 v[10:11], v[4:5], v[0:1]
	v_fma_f64 v[2:3], v[0:1], v[6:7], -v[2:3]
	v_mul_f64 v[0:1], v[10:11], s[0:1]
	v_mul_f64 v[2:3], v[2:3], s[0:1]
	v_lshl_add_u64 v[4:5], v[8:9], 0, s[2:3]
	global_store_dwordx4 v[4:5], v[0:3], off
.LBB0_31:
	s_endpgm
	.section	.rodata,"a",@progbits
	.p2align	6, 0x0
	.amdhsa_kernel bluestein_single_back_len1728_dim1_dp_op_CI_CI
		.amdhsa_group_segment_fixed_size 27648
		.amdhsa_private_segment_fixed_size 0
		.amdhsa_kernarg_size 104
		.amdhsa_user_sgpr_count 2
		.amdhsa_user_sgpr_dispatch_ptr 0
		.amdhsa_user_sgpr_queue_ptr 0
		.amdhsa_user_sgpr_kernarg_segment_ptr 1
		.amdhsa_user_sgpr_dispatch_id 0
		.amdhsa_user_sgpr_kernarg_preload_length 0
		.amdhsa_user_sgpr_kernarg_preload_offset 0
		.amdhsa_user_sgpr_private_segment_size 0
		.amdhsa_uses_dynamic_stack 0
		.amdhsa_enable_private_segment 0
		.amdhsa_system_sgpr_workgroup_id_x 1
		.amdhsa_system_sgpr_workgroup_id_y 0
		.amdhsa_system_sgpr_workgroup_id_z 0
		.amdhsa_system_sgpr_workgroup_info 0
		.amdhsa_system_vgpr_workitem_id 0
		.amdhsa_next_free_vgpr 353
		.amdhsa_next_free_sgpr 24
		.amdhsa_accum_offset 256
		.amdhsa_reserve_vcc 1
		.amdhsa_float_round_mode_32 0
		.amdhsa_float_round_mode_16_64 0
		.amdhsa_float_denorm_mode_32 3
		.amdhsa_float_denorm_mode_16_64 3
		.amdhsa_dx10_clamp 1
		.amdhsa_ieee_mode 1
		.amdhsa_fp16_overflow 0
		.amdhsa_tg_split 0
		.amdhsa_exception_fp_ieee_invalid_op 0
		.amdhsa_exception_fp_denorm_src 0
		.amdhsa_exception_fp_ieee_div_zero 0
		.amdhsa_exception_fp_ieee_overflow 0
		.amdhsa_exception_fp_ieee_underflow 0
		.amdhsa_exception_fp_ieee_inexact 0
		.amdhsa_exception_int_div_zero 0
	.end_amdhsa_kernel
	.text
.Lfunc_end0:
	.size	bluestein_single_back_len1728_dim1_dp_op_CI_CI, .Lfunc_end0-bluestein_single_back_len1728_dim1_dp_op_CI_CI
                                        ; -- End function
	.section	.AMDGPU.csdata,"",@progbits
; Kernel info:
; codeLenInByte = 19832
; NumSgprs: 30
; NumVgprs: 256
; NumAgprs: 97
; TotalNumVgprs: 353
; ScratchSize: 0
; MemoryBound: 0
; FloatMode: 240
; IeeeMode: 1
; LDSByteSize: 27648 bytes/workgroup (compile time only)
; SGPRBlocks: 3
; VGPRBlocks: 44
; NumSGPRsForWavesPerEU: 30
; NumVGPRsForWavesPerEU: 353
; AccumOffset: 256
; Occupancy: 1
; WaveLimiterHint : 1
; COMPUTE_PGM_RSRC2:SCRATCH_EN: 0
; COMPUTE_PGM_RSRC2:USER_SGPR: 2
; COMPUTE_PGM_RSRC2:TRAP_HANDLER: 0
; COMPUTE_PGM_RSRC2:TGID_X_EN: 1
; COMPUTE_PGM_RSRC2:TGID_Y_EN: 0
; COMPUTE_PGM_RSRC2:TGID_Z_EN: 0
; COMPUTE_PGM_RSRC2:TIDIG_COMP_CNT: 0
; COMPUTE_PGM_RSRC3_GFX90A:ACCUM_OFFSET: 63
; COMPUTE_PGM_RSRC3_GFX90A:TG_SPLIT: 0
	.text
	.p2alignl 6, 3212836864
	.fill 256, 4, 3212836864
	.type	__hip_cuid_3263cab46699bc62,@object ; @__hip_cuid_3263cab46699bc62
	.section	.bss,"aw",@nobits
	.globl	__hip_cuid_3263cab46699bc62
__hip_cuid_3263cab46699bc62:
	.byte	0                               ; 0x0
	.size	__hip_cuid_3263cab46699bc62, 1

	.ident	"AMD clang version 19.0.0git (https://github.com/RadeonOpenCompute/llvm-project roc-6.4.0 25133 c7fe45cf4b819c5991fe208aaa96edf142730f1d)"
	.section	".note.GNU-stack","",@progbits
	.addrsig
	.addrsig_sym __hip_cuid_3263cab46699bc62
	.amdgpu_metadata
---
amdhsa.kernels:
  - .agpr_count:     97
    .args:
      - .actual_access:  read_only
        .address_space:  global
        .offset:         0
        .size:           8
        .value_kind:     global_buffer
      - .actual_access:  read_only
        .address_space:  global
        .offset:         8
        .size:           8
        .value_kind:     global_buffer
      - .actual_access:  read_only
        .address_space:  global
        .offset:         16
        .size:           8
        .value_kind:     global_buffer
      - .actual_access:  read_only
        .address_space:  global
        .offset:         24
        .size:           8
        .value_kind:     global_buffer
      - .actual_access:  read_only
        .address_space:  global
        .offset:         32
        .size:           8
        .value_kind:     global_buffer
      - .offset:         40
        .size:           8
        .value_kind:     by_value
      - .address_space:  global
        .offset:         48
        .size:           8
        .value_kind:     global_buffer
      - .address_space:  global
        .offset:         56
        .size:           8
        .value_kind:     global_buffer
      - .address_space:  global
        .offset:         64
        .size:           8
        .value_kind:     global_buffer
      - .address_space:  global
        .offset:         72
        .size:           8
        .value_kind:     global_buffer
      - .offset:         80
        .size:           4
        .value_kind:     by_value
      - .address_space:  global
        .offset:         88
        .size:           8
        .value_kind:     global_buffer
      - .address_space:  global
        .offset:         96
        .size:           8
        .value_kind:     global_buffer
    .group_segment_fixed_size: 27648
    .kernarg_segment_align: 8
    .kernarg_segment_size: 104
    .language:       OpenCL C
    .language_version:
      - 2
      - 0
    .max_flat_workgroup_size: 108
    .name:           bluestein_single_back_len1728_dim1_dp_op_CI_CI
    .private_segment_fixed_size: 0
    .sgpr_count:     30
    .sgpr_spill_count: 0
    .symbol:         bluestein_single_back_len1728_dim1_dp_op_CI_CI.kd
    .uniform_work_group_size: 1
    .uses_dynamic_stack: false
    .vgpr_count:     353
    .vgpr_spill_count: 0
    .wavefront_size: 64
amdhsa.target:   amdgcn-amd-amdhsa--gfx950
amdhsa.version:
  - 1
  - 2
...

	.end_amdgpu_metadata
